;; amdgpu-corpus repo=ROCm/aiter kind=harvested arch=n/a opt=n/a

/root/src/amdgpu-assembly/repos/ROCm__aiter/hsa/gfx942/fmoe/gelu/fmoe_fp8_g1u1_subGU_192_gelu_tkw1.co:	file format elf64-amdgpu

Disassembly of section .text:

0000000000002b00 <fmoe_fp8_g1u1_subGU_192_gelu_tkw1>:
	s_and_b32 s1, s1, 0xffff                                   // 000000002B00: 8601FF01 0000FFFF
	s_load_dwordx2 s[8:9], s[0:1], 0x0                         // 000000002B08: C0060200 00000000
	s_load_dwordx2 s[20:21], s[0:1], 0x10                      // 000000002B10: C0060500 00000010
	s_load_dwordx2 s[24:25], s[0:1], 0x20                      // 000000002B18: C0060600 00000020
	s_load_dwordx2 s[50:51], s[0:1], 0x30                      // 000000002B20: C0060C80 00000030
	s_load_dwordx2 s[12:13], s[0:1], 0x40                      // 000000002B28: C0060300 00000040
	s_load_dwordx2 s[28:29], s[0:1], 0x50                      // 000000002B30: C0060700 00000050
	s_load_dwordx2 s[32:33], s[0:1], 0x60                      // 000000002B38: C0060800 00000060
	s_load_dwordx2 s[16:17], s[0:1], 0x70                      // 000000002B40: C0060400 00000070
	s_load_dwordx2 s[36:37], s[0:1], 0x80                      // 000000002B48: C0060900 00000080
	s_load_dwordx2 s[44:45], s[0:1], 0x90                      // 000000002B50: C0060B00 00000090
	s_load_dwordx2 s[40:41], s[0:1], 0xa0                      // 000000002B58: C0060A00 000000A0
	s_load_dwordx2 s[46:47], s[0:1], 0xb0                      // 000000002B60: C0060B80 000000B0
	s_load_dword s64, s[0:1], 0xc0                             // 000000002B68: C0021000 000000C0
	s_load_dword s65, s[0:1], 0xd0                             // 000000002B70: C0021040 000000D0
	s_load_dword s66, s[0:1], 0xe0                             // 000000002B78: C0021080 000000E0
	s_load_dword s67, s[0:1], 0xf0                             // 000000002B80: C00210C0 000000F0
	s_load_dword s68, s[0:1], 0x100                            // 000000002B88: C0021100 00000100
	s_load_dword s69, s[0:1], 0x110                            // 000000002B90: C0021140 00000110
	s_load_dword s70, s[0:1], 0x120                            // 000000002B98: C0021180 00000120
	s_load_dword s71, s[0:1], 0x130                            // 000000002BA0: C00211C0 00000130
	s_load_dword s72, s[0:1], 0x140                            // 000000002BA8: C0021200 00000140
	s_load_dword s73, s[0:1], 0x150                            // 000000002BB0: C0021240 00000150
	s_load_dword s74, s[0:1], 0x160                            // 000000002BB8: C0021280 00000160
	s_load_dword s75, s[0:1], 0x170                            // 000000002BC0: C00212C0 00000170
	s_load_dword s76, s[0:1], 0x180                            // 000000002BC8: C0021300 00000180
	v_lshrrev_b32_e32 v1, 10, v0                               // 000000002BD0: 2002008A
	v_lshrrev_b32_e32 v2, 10, v1                               // 000000002BD4: 2004028A
	v_and_b32_e32 v2, 0x3ff, v2                                // 000000002BD8: 260404FF 000003FF
	v_and_b32_e32 v1, 0x3ff, v1                                // 000000002BE0: 260202FF 000003FF
	v_and_b32_e32 v0, 0x3ff, v0                                // 000000002BE8: 260000FF 000003FF
	v_lshrrev_b32_e32 v3, 6, v0                                // 000000002BF0: 20060086
	v_and_b32_e32 v0, 63, v0                                   // 000000002BF4: 260000BF
	s_mov_b32 s2, s2                                           // 000000002BF8: BE820002
	s_mov_b32 s3, s3                                           // 000000002BFC: BE830003
	s_mov_b32 s4, s4                                           // 000000002C00: BE840004
	v_readfirstlane_b32 s7, v3                                 // 000000002C04: 7E0E0503
	s_waitcnt lgkmcnt(0)                                       // 000000002C08: BF8CC07F
	s_and_b32 s51, s51, 0xffff                                 // 000000002C0C: 8633FF33 0000FFFF
	s_load_dword s50, s[50:51], 0x0                            // 000000002C14: C0020C99 00000000
	s_and_b32 s45, s45, 0xffff                                 // 000000002C1C: 862DFF2D 0000FFFF
	s_and_b32 s47, s47, 0xffff                                 // 000000002C24: 862FFF2F 0000FFFF
	s_and_b32 s9, s9, 0xffff                                   // 000000002C2C: 8609FF09 0000FFFF
	s_mul_i32 s60, s66, s68                                    // 000000002C34: 923C4442
	s_mul_i32 s61, s66, 4                                      // 000000002C38: 923D8442
	s_mov_b32 s22, s60                                         // 000000002C3C: BE96003C
	s_mov_b32 s26, 0x80000000                                  // 000000002C40: BE9A00FF 80000000
	s_mov_b32 s14, 0x80000000                                  // 000000002C48: BE8E00FF 80000000
	s_mov_b32 s42, 0x80000000                                  // 000000002C50: BEAA00FF 80000000
	s_mov_b32 s30, s61                                         // 000000002C58: BE9E003D
	s_mov_b32 s34, 0x300                                       // 000000002C5C: BEA200FF 00000300
	s_mov_b32 s38, 0x300                                       // 000000002C64: BEA600FF 00000300
	s_mov_b32 s18, 0x80000000                                  // 000000002C6C: BE9200FF 80000000
	s_mov_b32 s23, 0x20000                                     // 000000002C74: BE9700FF 00020000
	s_mov_b32 s27, 0x20000                                     // 000000002C7C: BE9B00FF 00020000
	s_mov_b32 s15, 0x20000                                     // 000000002C84: BE8F00FF 00020000
	s_mov_b32 s43, 0x20000                                     // 000000002C8C: BEAB00FF 00020000
	s_mov_b32 s31, 0x20000                                     // 000000002C94: BE9F00FF 00020000
	s_mov_b32 s35, 0x20000                                     // 000000002C9C: BEA300FF 00020000
	s_mov_b32 s39, 0x20000                                     // 000000002CA4: BEA700FF 00020000
	s_mov_b32 s19, 0x20000                                     // 000000002CAC: BE9300FF 00020000
	s_and_b32 s21, s21, 0xffff                                 // 000000002CB4: 8615FF15 0000FFFF
	s_and_b32 s25, s25, 0xffff                                 // 000000002CBC: 8619FF19 0000FFFF
	s_and_b32 s13, s13, 0xffff                                 // 000000002CC4: 860DFF0D 0000FFFF
	s_and_b32 s41, s41, 0xffff                                 // 000000002CCC: 8629FF29 0000FFFF
	s_and_b32 s29, s29, 0xffff                                 // 000000002CD4: 861DFF1D 0000FFFF
	s_and_b32 s33, s33, 0xffff                                 // 000000002CDC: 8621FF21 0000FFFF
	s_and_b32 s37, s37, 0xffff                                 // 000000002CE4: 8625FF25 0000FFFF
	s_and_b32 s17, s17, 0xffff                                 // 000000002CEC: 8611FF11 0000FFFF
	s_or_b32 s21, s21, 0x40000                                 // 000000002CF4: 8715FF15 00040000
	s_or_b32 s25, s25, 0x40000                                 // 000000002CFC: 8719FF19 00040000
	s_or_b32 s13, s13, 0x40000                                 // 000000002D04: 870DFF0D 00040000
	s_or_b32 s41, s41, 0x40000                                 // 000000002D0C: 8729FF29 00040000
	s_or_b32 s29, s29, 0x40000                                 // 000000002D14: 871DFF1D 00040000
	s_or_b32 s33, s33, 0x40000                                 // 000000002D1C: 8721FF21 00040000
	s_or_b32 s37, s37, 0x40000                                 // 000000002D24: 8725FF25 00040000
	s_or_b32 s17, s17, 0x40000                                 // 000000002D2C: 8711FF11 00040000
	v_accvgpr_write_b32 a95, 0                                 // 000000002D34: D3D9405F 18000080
	v_mov_b32_e32 v215, 0                                      // 000000002D3C: 7FAE0280
	s_waitcnt lgkmcnt(0)                                       // 000000002D40: BF8CC07F
	s_mul_i32 s60, s3, 32                                      // 000000002D44: 923CA003
	s_cmp_lt_i32 s60, s50                                      // 000000002D48: BF04323C
	s_cbranch_scc0 label_1640                                  // 000000002D4C: BF8415AC
	s_mov_b32 s80, 0                                           // 000000002D50: BED00080
	s_mov_b32 s81, s64                                         // 000000002D54: BED10040
	s_mul_i32 s60, s3, 4                                       // 000000002D58: 923C8403
	s_add_u32 s46, s60, s46                                    // 000000002D5C: 802E2E3C
	s_addc_u32 s47, 0, s47                                     // 000000002D60: 822F2F80
	s_load_dword s5, s[46:47], 0x0                             // 000000002D64: C0020157 00000000
	s_mul_i32 s60, s3, 32                                      // 000000002D6C: 923CA003
	s_mul_i32 s60, 4, s60                                      // 000000002D70: 923C3C84
	v_and_b32_e32 v44, 15, v0                                  // 000000002D74: 2658008F
	v_lshlrev_b32_e32 v44, 2, v44                              // 000000002D78: 24585882
	v_add_u32_e32 v44, s60, v44                                // 000000002D7C: 6858583C
	v_mov_b32_e32 v45, 0                                       // 000000002D80: 7E5A0280
	global_load_dword v6, v44, s[44:45]                        // 000000002D84: DC508000 062C002C
	v_add_u32_e32 v44, 64, v44                                 // 000000002D8C: 685858C0
	global_load_dword v7, v44, s[44:45]                        // 000000002D90: DC508000 072C002C
	s_mul_i32 s60, s3, 32                                      // 000000002D98: 923CA003
	s_add_u32 s60, s7, s60                                     // 000000002D9C: 803C3C07
	s_mul_i32 s60, 4, s60                                      // 000000002DA0: 923C3C84
	s_add_u32 s44, s60, s44                                    // 000000002DA4: 802C2C3C
	s_addc_u32 s45, 0, s45                                     // 000000002DA8: 822D2D80
	s_load_dword s82, s[44:45], 0x0                            // 000000002DAC: C0021496 00000000
	s_load_dword s83, s[44:45], 0x10                           // 000000002DB4: C00214D6 00000010
	s_load_dword s84, s[44:45], 0x20                           // 000000002DBC: C0021516 00000020
	s_load_dword s85, s[44:45], 0x30                           // 000000002DC4: C0021556 00000030
	s_load_dword s86, s[44:45], 0x40                           // 000000002DCC: C0021596 00000040
	s_load_dword s87, s[44:45], 0x50                           // 000000002DD4: C00215D6 00000050
	s_load_dword s88, s[44:45], 0x60                           // 000000002DDC: C0021616 00000060
	s_load_dword s89, s[44:45], 0x70                           // 000000002DE4: C0021656 00000070
	s_waitcnt lgkmcnt(0)                                       // 000000002DEC: BF8CC07F
	v_lshlrev_b32_e32 v44, 2, v0                               // 000000002DF0: 24580082
	s_and_b32 s82, s82, 0xffffff                               // 000000002DF4: 8652FF52 00FFFFFF
	s_mul_i32 s60, s82, s68                                    // 000000002DFC: 923C4452
	v_add_u32_e64 v24, v44, s60                                // 000000002E00: D1340018 0000792C
	s_and_b32 s83, s83, 0xffffff                               // 000000002E08: 8653FF53 00FFFFFF
	s_mul_i32 s60, s83, s68                                    // 000000002E10: 923C4453
	v_add_u32_e64 v25, v44, s60                                // 000000002E14: D1340019 0000792C
	s_and_b32 s84, s84, 0xffffff                               // 000000002E1C: 8654FF54 00FFFFFF
	s_mul_i32 s60, s84, s68                                    // 000000002E24: 923C4454
	v_add_u32_e64 v26, v44, s60                                // 000000002E28: D134001A 0000792C
	s_and_b32 s85, s85, 0xffffff                               // 000000002E30: 8655FF55 00FFFFFF
	s_mul_i32 s60, s85, s68                                    // 000000002E38: 923C4455
	v_add_u32_e64 v27, v44, s60                                // 000000002E3C: D134001B 0000792C
	s_and_b32 s86, s86, 0xffffff                               // 000000002E44: 8656FF56 00FFFFFF
	s_mul_i32 s60, s86, s68                                    // 000000002E4C: 923C4456
	v_add_u32_e64 v28, v44, s60                                // 000000002E50: D134001C 0000792C
	s_and_b32 s87, s87, 0xffffff                               // 000000002E58: 8657FF57 00FFFFFF
	s_mul_i32 s60, s87, s68                                    // 000000002E60: 923C4457
	v_add_u32_e64 v29, v44, s60                                // 000000002E64: D134001D 0000792C
	s_and_b32 s88, s88, 0xffffff                               // 000000002E6C: 8658FF58 00FFFFFF
	s_mul_i32 s60, s88, s68                                    // 000000002E74: 923C4458
	v_add_u32_e64 v30, v44, s60                                // 000000002E78: D134001E 0000792C
	s_and_b32 s89, s89, 0xffffff                               // 000000002E80: 8659FF59 00FFFFFF
	s_mul_i32 s60, s89, s68                                    // 000000002E88: 923C4459
	v_add_u32_e64 v31, v44, s60                                // 000000002E8C: D134001F 0000792C
	v_lshlrev_b32_e32 v44, 2, v0                               // 000000002E94: 24580082
	s_mul_i32 s60, s82, s71                                    // 000000002E98: 923C4752
	v_add_u32_e64 v80, v44, s60                                // 000000002E9C: D1340050 0000792C
	v_mov_b32_e32 v81, 0                                       // 000000002EA4: 7EA20280
	s_mul_i32 s60, s83, s71                                    // 000000002EA8: 923C4753
	v_add_u32_e64 v82, v44, s60                                // 000000002EAC: D1340052 0000792C
	v_mov_b32_e32 v83, 0                                       // 000000002EB4: 7EA60280
	s_mul_i32 s60, s84, s71                                    // 000000002EB8: 923C4754
	v_add_u32_e64 v84, v44, s60                                // 000000002EBC: D1340054 0000792C
	v_mov_b32_e32 v85, 0                                       // 000000002EC4: 7EAA0280
	s_mul_i32 s60, s85, s71                                    // 000000002EC8: 923C4755
	v_add_u32_e64 v86, v44, s60                                // 000000002ECC: D1340056 0000792C
	v_mov_b32_e32 v87, 0                                       // 000000002ED4: 7EAE0280
	s_mul_i32 s60, s86, s71                                    // 000000002ED8: 923C4756
	v_add_u32_e64 v88, v44, s60                                // 000000002EDC: D1340058 0000792C
	v_mov_b32_e32 v89, 0                                       // 000000002EE4: 7EB20280
	s_mul_i32 s60, s87, s71                                    // 000000002EE8: 923C4757
	v_add_u32_e64 v90, v44, s60                                // 000000002EEC: D134005A 0000792C
	v_mov_b32_e32 v91, 0                                       // 000000002EF4: 7EB60280
	s_mul_i32 s60, s88, s71                                    // 000000002EF8: 923C4758
	v_add_u32_e64 v92, v44, s60                                // 000000002EFC: D134005C 0000792C
	v_mov_b32_e32 v93, 0                                       // 000000002F04: 7EBA0280
	s_mul_i32 s60, s89, s71                                    // 000000002F08: 923C4759
	v_add_u32_e64 v94, v44, s60                                // 000000002F0C: D134005E 0000792C
	v_mov_b32_e32 v95, 0                                       // 000000002F14: 7EBE0280
	s_mul_i32 s60, s7, 0x820                                   // 000000002F18: 923CFF07 00000820
	s_add_u32 s50, 0, s60                                      // 000000002F20: 80323C80
	s_add_u32 s51, 0x2080, s50                                 // 000000002F24: 803332FF 00002080
	v_lshrrev_b32_e32 v44, 4, v0                               // 000000002F2C: 20580084
	v_lshlrev_b32_e32 v45, 2, v44                              // 000000002F30: 245A5882
	v_and_b32_e32 v44, 15, v0                                  // 000000002F34: 2658008F
	v_lshrrev_b32_e32 v46, 2, v44                              // 000000002F38: 205C5882
	v_lshlrev_b32_e32 v46, 6, v46                              // 000000002F3C: 245C5C86
	v_add_u32_e32 v45, v46, v45                                // 000000002F40: 685A5B2E
	v_and_b32_e32 v44, 3, v0                                   // 000000002F44: 26580083
	v_mul_i32_i24_e32 v46, 0x208, v44                          // 000000002F48: 0C5C58FF 00000208
	v_add_u32_e32 v45, v46, v45                                // 000000002F50: 685A5B2E
	v_lshlrev_b32_e32 v2, 2, v45                               // 000000002F54: 24045A82
	s_mul_i32 s60, s2, 0xc0                                    // 000000002F58: 923CFF02 000000C0
	s_mul_i32 s60, s60, s69                                    // 000000002F60: 923C453C
	s_mul_i32 s61, s5, s72                                     // 000000002F64: 923D4805
	s_add_u32 s60, s61, s60                                    // 000000002F68: 803C3C3D
	s_add_u32 s24, s60, s24                                    // 000000002F6C: 8018183C
	s_addc_u32 s25, 0, s25                                     // 000000002F70: 82191980
	s_mul_i32 s60, s7, 16                                      // 000000002F74: 923C9007
	s_mul_i32 s60, s60, s69                                    // 000000002F78: 923C453C
	v_lshlrev_b32_e32 v32, 4, v0                               // 000000002F7C: 24400084
	v_add_u32_e32 v32, s60, v32                                // 000000002F80: 6840403C
	s_mul_i32 s60, 64, s69                                     // 000000002F84: 923C45C0
	v_add_u32_e32 v33, s60, v32                                // 000000002F88: 6842403C
	v_add_u32_e32 v34, s60, v33                                // 000000002F8C: 6844423C
	s_mov_b32 s92, s24                                         // 000000002F90: BEDC0018
	s_mov_b32 s93, s25                                         // 000000002F94: BEDD0019
	s_mov_b32 s94, s26                                         // 000000002F98: BEDE001A
	s_mov_b32 s95, s27                                         // 000000002F9C: BEDF001B
	s_mul_i32 s60, s69, s65                                    // 000000002FA0: 923C4145
	s_add_u32 s92, s60, s92                                    // 000000002FA4: 805C5C3C
	s_addc_u32 s93, 0, s93                                     // 000000002FA8: 825D5D80
	s_mul_i32 s60, s2, 0xc00                                   // 000000002FAC: 923CFF02 00000C00
	s_mul_i32 s61, s5, s73                                     // 000000002FB4: 923D4905
	s_add_u32 s60, s61, s60                                    // 000000002FB8: 803C3C3D
	s_add_u32 s12, s60, s12                                    // 000000002FBC: 800C0C3C
	s_addc_u32 s13, 0, s13                                     // 000000002FC0: 820D0D80
	s_mul_i32 s60, s7, 16                                      // 000000002FC4: 923C9007
	s_mul_i32 s60, s60, s70                                    // 000000002FC8: 923C463C
	v_lshlrev_b32_e32 v35, 4, v0                               // 000000002FCC: 24460084
	v_add_u32_e32 v35, s60, v35                                // 000000002FD0: 6846463C
	s_mul_i32 s60, 64, s70                                     // 000000002FD4: 923C46C0
	v_add_u32_e32 v36, s60, v35                                // 000000002FD8: 6848463C
	v_add_u32_e32 v37, s60, v36                                // 000000002FDC: 684A483C
	v_add_u32_e32 v38, s60, v37                                // 000000002FE0: 684C4A3C
	s_mul_i32 s60, s70, 0x100                                  // 000000002FE4: 923CFF46 00000100
	s_mov_b32 s78, 0x400                                       // 000000002FEC: BECE00FF 00000400
	s_mul_i32 s61, s78, 2                                      // 000000002FF4: 923D824E
	s_sub_u32 s56, s60, s61                                    // 000000002FF8: 80B83D3C
	s_mul_i32 s60, s3, 32                                      // 000000002FFC: 923CA003
	s_mul_i32 s60, 4, s60                                      // 000000003000: 923C3C84
	s_add_u32 s40, s60, s40                                    // 000000003004: 8028283C
	s_addc_u32 s41, 0, s41                                     // 000000003008: 82292980
	v_and_b32_e32 v44, 15, v0                                  // 00000000300C: 2658008F
	v_lshlrev_b32_e32 v8, 2, v44                               // 000000003010: 24105882
	v_add_u32_e32 v9, 64, v8                                   // 000000003014: 681210C0
	v_lshrrev_b32_e32 v44, 4, v0                               // 000000003018: 20580084
	v_lshlrev_b32_e32 v45, 2, v44                              // 00000000301C: 245A5882
	v_and_b32_e32 v44, 15, v0                                  // 000000003020: 2658008F
	v_lshrrev_b32_e32 v46, 2, v44                              // 000000003024: 205C5882
	v_lshlrev_b32_e32 v46, 6, v46                              // 000000003028: 245C5C86
	v_add_u32_e32 v45, v46, v45                                // 00000000302C: 685A5B2E
	v_and_b32_e32 v44, 3, v0                                   // 000000003030: 26580083
	v_add_u32_e32 v45, v44, v45                                // 000000003034: 685A5B2C
	v_lshlrev_b32_e32 v10, 2, v45                              // 000000003038: 24145A82
	v_add_u32_e32 v11, 0x400, v10                              // 00000000303C: 681614FF 00000400
	s_mul_i32 s60, s7, 16                                      // 000000003044: 923C9007
	s_mul_i32 s60, s60, 4                                      // 000000003048: 923C843C
	v_add_u32_e32 v10, s60, v10                                // 00000000304C: 6814143C
	v_add_u32_e32 v11, s60, v11                                // 000000003050: 6816163C
	v_mov_b32_e32 v5, v10                                      // 000000003054: 7E0A030A
	s_mul_i32 s60, s2, 0xc0                                    // 000000003058: 923CFF02 000000C0
	s_mul_i32 s60, s60, 4                                      // 000000003060: 923C843C
	s_mul_i32 s61, s5, s74                                     // 000000003064: 923D4A05
	s_add_u32 s61, s61, s60                                    // 000000003068: 803D3C3D
	s_mul_i32 s62, s5, s76                                     // 00000000306C: 923E4C05
	s_add_u32 s62, s62, s60                                    // 000000003070: 803E3C3E
	s_add_u32 s32, s61, s32                                    // 000000003074: 8020203D
	s_addc_u32 s33, 0, s33                                     // 000000003078: 82212180
	s_add_u32 s36, s62, s36                                    // 00000000307C: 8024243E
	s_addc_u32 s37, 0, s37                                     // 000000003080: 82252580
	s_mul_i32 s60, s5, s75                                     // 000000003084: 923C4B05
	s_add_u32 s16, s60, s16                                    // 000000003088: 8010103C
	s_addc_u32 s17, 0, s17                                     // 00000000308C: 82111180
	s_mov_b32 s57, 0x100                                       // 000000003090: BEB900FF 00000100
	s_mov_b32 s58, 0x1000                                      // 000000003098: BEBA00FF 00001000
	s_mov_b32 s79, 0x400                                       // 0000000030A0: BECF00FF 00000400
	s_mov_b32 s59, 0x200                                       // 0000000030A8: BEBB00FF 00000200
	s_mov_b32 s90, s58                                         // 0000000030B0: BEDA003A
	s_mov_b32 s52, 0x7060302                                   // 0000000030B4: BEB400FF 07060302
	s_mov_b32 s53, 0x400                                       // 0000000030BC: BEB500FF 00000400
	s_mov_b32 s54, 0x40100                                     // 0000000030C4: BEB600FF 00040100
	s_mov_b32 s55, 0x4020100                                   // 0000000030CC: BEB700FF 04020100
	s_mov_b32 s6, 0x3fb8aa3b                                   // 0000000030D4: BE8600FF 3FB8AA3B
	s_mov_b32 s77, 0xbd92220c                                  // 0000000030DC: BECD00FF BD92220C
	s_mov_b32 m0, s50                                          // 0000000030E4: BEFC0032
	v_mov_b32_e32 v1, 0xbfcc4231                               // 0000000030E8: 7E0202FF BFCC4231
	v_mov_b32_e32 v40, 0xffff0000                              // 0000000030F0: 7E5002FF FFFF0000
	v_mov_b32_e32 v41, 0x7fff0000                              // 0000000030F8: 7E5202FF 7FFF0000
	v_mov_b32_e32 v42, 0x7fff                                  // 000000003100: 7E5402FF 00007FFF
	s_waitcnt vmcnt(0) expcnt(0) lgkmcnt(0)                    // 000000003108: BF8C0000
	v_and_b32_e32 v6, 0xffffff, v6                             // 00000000310C: 260C0CFF 00FFFFFF
	v_and_b32_e32 v7, 0xffffff, v7                             // 000000003114: 260E0EFF 00FFFFFF
	v_lshlrev_b32_e32 v6, 2, v6                                // 00000000311C: 240C0C82
	v_lshlrev_b32_e32 v7, 2, v7                                // 000000003120: 240E0E82
	buffer_load_dword v13, v6, s[28:31], 0 offen               // 000000003124: E0501000 80070D06
	buffer_load_dword v14, v7, s[28:31], 0 offen               // 00000000312C: E0501000 80070E07
	buffer_load_dword v15, v10, s[32:35], 0 offen              // 000000003134: E0501000 80080F0A
	buffer_load_dword v16, v11, s[32:35], 0 offen              // 00000000313C: E0501000 8008100B
	s_mul_i32 s60, 4, s65                                      // 000000003144: 923C4184
	s_add_u32 s32, s60, s32                                    // 000000003148: 8020203C
	s_addc_u32 s33, 0, s33                                     // 00000000314C: 82212180
	buffer_load_dword v43, v10, s[32:35], 0 offen              // 000000003150: E0501000 80082B0A
	buffer_load_dword v44, v11, s[32:35], 0 offen              // 000000003158: E0501000 80082C0B
	buffer_load_dword v17, v8, s[40:43], 0 offen               // 000000003160: E0501000 800A1108
	buffer_load_dword v18, v9, s[40:43], 0 offen               // 000000003168: E0501000 800A1209
	buffer_load_dword v24, s[20:23], 0 offen lds               // 000000003170: E0511000 80050018
	s_add_u32 m0, 0x100, s50                                   // 000000003178: 807C32FF 00000100
	buffer_load_dword v25, s[20:23], 0 offen lds               // 000000003180: E0511000 80050019
	s_add_u32 m0, 0x200, s50                                   // 000000003188: 807C32FF 00000200
	buffer_load_dword v26, s[20:23], 0 offen lds               // 000000003190: E0511000 8005001A
	s_add_u32 m0, 0x300, s50                                   // 000000003198: 807C32FF 00000300
	buffer_load_dword v27, s[20:23], 0 offen lds               // 0000000031A0: E0511000 8005001B
	s_add_u32 m0, 0x400, s50                                   // 0000000031A8: 807C32FF 00000400
	buffer_load_dword v28, s[20:23], 0 offen lds               // 0000000031B0: E0511000 8005001C
	s_add_u32 m0, 0x500, s50                                   // 0000000031B8: 807C32FF 00000500
	buffer_load_dword v29, s[20:23], 0 offen lds               // 0000000031C0: E0511000 8005001D
	s_add_u32 m0, 0x600, s50                                   // 0000000031C8: 807C32FF 00000600
	buffer_load_dword v30, s[20:23], 0 offen lds               // 0000000031D0: E0511000 8005001E
	s_add_u32 m0, 0x700, s50                                   // 0000000031D8: 807C32FF 00000700
	buffer_load_dword v31, s[20:23], 0 offen lds               // 0000000031E0: E0511000 8005001F
	s_add_u32 m0, 0, s51                                       // 0000000031E8: 807C3380
	s_add_u32 s20, s57, s20                                    // 0000000031EC: 80141439
	s_addc_u32 s21, 0, s21                                     // 0000000031F0: 82151580
	buffer_load_dwordx4 a[0:3], v32, s[24:27], 0 offen         // 0000000031F4: E05C1000 80860020
	buffer_load_dwordx4 a[4:7], v32, s[24:27], 0 offen offset:1024// 0000000031FC: E05C1400 80860420
	buffer_load_dwordx4 a[8:11], v32, s[24:27], 0 offen offset:2048// 000000003204: E05C1800 80860820
	buffer_load_dwordx4 a[12:15], v32, s[24:27], 0 offen offset:3072// 00000000320C: E05C1C00 80860C20
	buffer_load_dwordx4 a[16:19], v33, s[24:27], 0 offen       // 000000003214: E05C1000 80861021
	buffer_load_dwordx4 a[20:23], v33, s[24:27], 0 offen offset:1024// 00000000321C: E05C1400 80861421
	buffer_load_dwordx4 a[24:27], v33, s[24:27], 0 offen offset:2048// 000000003224: E05C1800 80861821
	buffer_load_dwordx4 a[28:31], v33, s[24:27], 0 offen offset:3072// 00000000322C: E05C1C00 80861C21
	buffer_load_dwordx4 a[32:35], v34, s[24:27], 0 offen       // 000000003234: E05C1000 80862022
	buffer_load_dwordx4 a[36:39], v34, s[24:27], 0 offen offset:1024// 00000000323C: E05C1400 80862422
	buffer_load_dwordx4 a[40:43], v34, s[24:27], 0 offen offset:2048// 000000003244: E05C1800 80862822
	buffer_load_dwordx4 a[44:47], v34, s[24:27], 0 offen offset:3072// 00000000324C: E05C1C00 80862C22
	s_add_u32 s24, s58, s24                                    // 000000003254: 8018183A
	s_addc_u32 s25, 0, s25                                     // 000000003258: 82191980
	v_mov_b32_e32 v128, 0                                      // 00000000325C: 7F000280
	v_mov_b32_e32 v64, 0                                       // 000000003260: 7E800280
	v_mov_b32_e32 v129, 0                                      // 000000003264: 7F020280
	v_mov_b32_e32 v65, 0                                       // 000000003268: 7E820280
	v_mov_b32_e32 v130, 0                                      // 00000000326C: 7F040280
	v_mov_b32_e32 v66, 0                                       // 000000003270: 7E840280
	v_mov_b32_e32 v131, 0                                      // 000000003274: 7F060280
	v_mov_b32_e32 v67, 0                                       // 000000003278: 7E860280
	v_mov_b32_e32 v132, 0                                      // 00000000327C: 7F080280
	v_mov_b32_e32 v68, 0                                       // 000000003280: 7E880280
	v_mov_b32_e32 v133, 0                                      // 000000003284: 7F0A0280
	v_mov_b32_e32 v69, 0                                       // 000000003288: 7E8A0280
	v_mov_b32_e32 v134, 0                                      // 00000000328C: 7F0C0280
	v_mov_b32_e32 v70, 0                                       // 000000003290: 7E8C0280
	v_mov_b32_e32 v135, 0                                      // 000000003294: 7F0E0280
	v_mov_b32_e32 v71, 0                                       // 000000003298: 7E8E0280
	v_mov_b32_e32 v136, 0                                      // 00000000329C: 7F100280
	v_mov_b32_e32 v72, 0                                       // 0000000032A0: 7E900280
	v_mov_b32_e32 v137, 0                                      // 0000000032A4: 7F120280
	v_mov_b32_e32 v73, 0                                       // 0000000032A8: 7E920280
	v_mov_b32_e32 v138, 0                                      // 0000000032AC: 7F140280
	v_mov_b32_e32 v74, 0                                       // 0000000032B0: 7E940280
	v_mov_b32_e32 v139, 0                                      // 0000000032B4: 7F160280
	v_mov_b32_e32 v75, 0                                       // 0000000032B8: 7E960280
	v_mov_b32_e32 v140, 0                                      // 0000000032BC: 7F180280
	v_mov_b32_e32 v76, 0                                       // 0000000032C0: 7E980280
	v_mov_b32_e32 v141, 0                                      // 0000000032C4: 7F1A0280
	v_mov_b32_e32 v77, 0                                       // 0000000032C8: 7E9A0280
	v_mov_b32_e32 v142, 0                                      // 0000000032CC: 7F1C0280
	v_mov_b32_e32 v78, 0                                       // 0000000032D0: 7E9C0280
	v_mov_b32_e32 v143, 0                                      // 0000000032D4: 7F1E0280
	v_mov_b32_e32 v79, 0                                       // 0000000032D8: 7E9E0280
	v_mov_b32_e32 v144, 0                                      // 0000000032DC: 7F200280
	v_mov_b32_e32 v80, 0                                       // 0000000032E0: 7EA00280
	v_mov_b32_e32 v145, 0                                      // 0000000032E4: 7F220280
	v_mov_b32_e32 v81, 0                                       // 0000000032E8: 7EA20280
	v_mov_b32_e32 v146, 0                                      // 0000000032EC: 7F240280
	v_mov_b32_e32 v82, 0                                       // 0000000032F0: 7EA40280
	v_mov_b32_e32 v147, 0                                      // 0000000032F4: 7F260280
	v_mov_b32_e32 v83, 0                                       // 0000000032F8: 7EA60280
	v_mov_b32_e32 v148, 0                                      // 0000000032FC: 7F280280
	v_mov_b32_e32 v84, 0                                       // 000000003300: 7EA80280
	v_mov_b32_e32 v149, 0                                      // 000000003304: 7F2A0280
	v_mov_b32_e32 v85, 0                                       // 000000003308: 7EAA0280
	v_mov_b32_e32 v150, 0                                      // 00000000330C: 7F2C0280
	v_mov_b32_e32 v86, 0                                       // 000000003310: 7EAC0280
	v_mov_b32_e32 v151, 0                                      // 000000003314: 7F2E0280
	v_mov_b32_e32 v87, 0                                       // 000000003318: 7EAE0280
	v_lshrrev_b32_e32 v44, 4, v0                               // 00000000331C: 20580084
	v_mul_i32_i24_e32 v3, 34, v44                              // 000000003320: 0C0658A2
	v_and_b32_e32 v44, 15, v0                                  // 000000003324: 2658008F
	v_mul_i32_i24_e32 v45, 2, v44                              // 000000003328: 0C5A5882
	v_add_u32_e32 v3, v45, v3                                  // 00000000332C: 6806072D
	s_mul_i32 s60, s7, 0x88                                    // 000000003330: 923CFF07 00000088
	v_add_u32_e32 v3, s60, v3                                  // 000000003338: 6806063C
	v_lshlrev_b32_e32 v3, 2, v3                                // 00000000333C: 24060682
	v_lshrrev_b32_e32 v44, 1, v0                               // 000000003340: 20580081
	v_mul_i32_i24_e32 v4, 34, v44                              // 000000003344: 0C0858A2
	v_and_b32_e32 v45, 1, v0                                   // 000000003348: 265A0081
	v_add_u32_e32 v4, v45, v4                                  // 00000000334C: 6808092D
	s_mul_i32 s60, s7, 2                                       // 000000003350: 923C8207
	v_add_u32_e32 v4, s60, v4                                  // 000000003354: 6808083C
	v_lshlrev_b32_e32 v4, 2, v4                                // 000000003358: 24080882
	s_waitcnt vmcnt(12)                                        // 00000000335C: BF8C0F7C
	s_barrier                                                  // 000000003360: BF8A0000
	ds_read_b128 v[152:155], v2                                // 000000003364: D9FE0000 98000002
	ds_read_b128 v[156:159], v2 offset:64                      // 00000000336C: D9FE0040 9C000002
	ds_read_b128 v[160:163], v2 offset:128                     // 000000003374: D9FE0080 A0000002
	ds_read_b128 v[164:167], v2 offset:192                     // 00000000337C: D9FE00C0 A4000002
	ds_read_b128 v[168:171], v2 offset:1024                    // 000000003384: D9FE0400 A8000002
	ds_read_b128 v[172:175], v2 offset:1088                    // 00000000338C: D9FE0440 AC000002
	ds_read_b128 v[176:179], v2 offset:1152                    // 000000003394: D9FE0480 B0000002
	ds_read_b128 v[180:183], v2 offset:1216                    // 00000000339C: D9FE04C0 B4000002
	s_cmp_lt_i32 s7, 2                                         // 0000000033A4: BF048207
	s_cbranch_scc0 label_0C37                                  // 0000000033A8: BF840A0C

00000000000033ac <label_022B>:
	s_waitcnt vmcnt(4) lgkmcnt(0)                              // 0000000033AC: BF8C0074
	s_barrier                                                  // 0000000033B0: BF8A0000
	v_mfma_f32_16x16x32_fp8_fp8 v[128:131], a[0:1], v[152:153], v[128:131]// 0000000033B4: D3F30080 0E033100
	v_mfma_f32_16x16x32_fp8_fp8 v[128:131], a[2:3], v[154:155], v[128:131]// 0000000033BC: D3F30080 0E033502
	buffer_load_dwordx4 a[48:51], v32, s[92:95], 0 offen       // 0000000033C4: E05C1000 80973020
	v_mfma_f32_16x16x32_fp8_fp8 v[128:131], a[4:5], v[156:157], v[128:131]// 0000000033CC: D3F30080 0E033904
	v_mfma_f32_16x16x32_fp8_fp8 v[128:131], a[6:7], v[158:159], v[128:131]// 0000000033D4: D3F30080 0E033D06
	buffer_load_dword v24, s[20:23], 0 offen lds               // 0000000033DC: E0511000 80050018
	s_add_u32 m0, 0x100, s51                                   // 0000000033E4: 807C33FF 00000100
	v_mfma_f32_16x16x32_fp8_fp8 v[128:131], a[8:9], v[160:161], v[128:131]// 0000000033EC: D3F30080 0E034108
	v_mfma_f32_16x16x32_fp8_fp8 v[128:131], a[10:11], v[162:163], v[128:131]// 0000000033F4: D3F30080 0E03450A
	buffer_load_dwordx4 a[52:55], v32, s[92:95], 0 offen offset:1024// 0000000033FC: E05C1400 80973420
	v_mfma_f32_16x16x32_fp8_fp8 v[128:131], a[12:13], v[164:165], v[128:131]// 000000003404: D3F30080 0E03490C
	v_mfma_f32_16x16x32_fp8_fp8 v[128:131], a[14:15], v[166:167], v[128:131]// 00000000340C: D3F30080 0E034D0E
	buffer_load_dword v25, s[20:23], 0 offen lds               // 000000003414: E0511000 80050019
	s_add_u32 m0, 0x200, s51                                   // 00000000341C: 807C33FF 00000200
	v_mfma_f32_16x16x32_fp8_fp8 v[132:135], a[0:1], v[168:169], v[132:135]// 000000003424: D3F30084 0E135100
	v_mfma_f32_16x16x32_fp8_fp8 v[132:135], a[2:3], v[170:171], v[132:135]// 00000000342C: D3F30084 0E135502
	buffer_load_dwordx4 a[56:59], v32, s[92:95], 0 offen offset:2048// 000000003434: E05C1800 80973820
	v_mfma_f32_16x16x32_fp8_fp8 v[132:135], a[4:5], v[172:173], v[132:135]// 00000000343C: D3F30084 0E135904
	v_mfma_f32_16x16x32_fp8_fp8 v[132:135], a[6:7], v[174:175], v[132:135]// 000000003444: D3F30084 0E135D06
	buffer_load_dword v26, s[20:23], 0 offen lds               // 00000000344C: E0511000 8005001A
	s_add_u32 m0, 0x300, s51                                   // 000000003454: 807C33FF 00000300
	v_mfma_f32_16x16x32_fp8_fp8 v[132:135], a[8:9], v[176:177], v[132:135]// 00000000345C: D3F30084 0E136108
	v_mfma_f32_16x16x32_fp8_fp8 v[132:135], a[10:11], v[178:179], v[132:135]// 000000003464: D3F30084 0E13650A
	buffer_load_dwordx4 a[60:63], v32, s[92:95], 0 offen offset:3072// 00000000346C: E05C1C00 80973C20
	v_mfma_f32_16x16x32_fp8_fp8 v[132:135], a[12:13], v[180:181], v[132:135]// 000000003474: D3F30084 0E13690C
	v_mfma_f32_16x16x32_fp8_fp8 v[132:135], a[14:15], v[182:183], v[132:135]// 00000000347C: D3F30084 0E136D0E
	buffer_load_dword v27, s[20:23], 0 offen lds               // 000000003484: E0511000 8005001B
	s_add_u32 m0, 0x400, s51                                   // 00000000348C: 807C33FF 00000400
	v_mfma_f32_16x16x32_fp8_fp8 v[136:139], a[16:17], v[152:153], v[136:139]// 000000003494: D3F30088 0E233110
	v_mfma_f32_16x16x32_fp8_fp8 v[136:139], a[18:19], v[154:155], v[136:139]// 00000000349C: D3F30088 0E233512
	buffer_load_dwordx4 a[64:67], v33, s[92:95], 0 offen       // 0000000034A4: E05C1000 80974021
	v_mfma_f32_16x16x32_fp8_fp8 v[136:139], a[20:21], v[156:157], v[136:139]// 0000000034AC: D3F30088 0E233914
	v_mfma_f32_16x16x32_fp8_fp8 v[136:139], a[22:23], v[158:159], v[136:139]// 0000000034B4: D3F30088 0E233D16
	buffer_load_dword v28, s[20:23], 0 offen lds               // 0000000034BC: E0511000 8005001C
	s_add_u32 m0, 0x500, s51                                   // 0000000034C4: 807C33FF 00000500
	v_mfma_f32_16x16x32_fp8_fp8 v[136:139], a[24:25], v[160:161], v[136:139]// 0000000034CC: D3F30088 0E234118
	v_mfma_f32_16x16x32_fp8_fp8 v[136:139], a[26:27], v[162:163], v[136:139]// 0000000034D4: D3F30088 0E23451A
	buffer_load_dwordx4 a[68:71], v33, s[92:95], 0 offen offset:1024// 0000000034DC: E05C1400 80974421
	v_mfma_f32_16x16x32_fp8_fp8 v[136:139], a[28:29], v[164:165], v[136:139]// 0000000034E4: D3F30088 0E23491C
	v_mfma_f32_16x16x32_fp8_fp8 v[136:139], a[30:31], v[166:167], v[136:139]// 0000000034EC: D3F30088 0E234D1E
	buffer_load_dword v29, s[20:23], 0 offen lds               // 0000000034F4: E0511000 8005001D
	s_add_u32 m0, 0x600, s51                                   // 0000000034FC: 807C33FF 00000600
	v_mfma_f32_16x16x32_fp8_fp8 v[140:143], a[16:17], v[168:169], v[140:143]// 000000003504: D3F3008C 0E335110
	v_mfma_f32_16x16x32_fp8_fp8 v[140:143], a[18:19], v[170:171], v[140:143]// 00000000350C: D3F3008C 0E335512
	buffer_load_dwordx4 a[72:75], v33, s[92:95], 0 offen offset:2048// 000000003514: E05C1800 80974821
	v_mfma_f32_16x16x32_fp8_fp8 v[140:143], a[20:21], v[172:173], v[140:143]// 00000000351C: D3F3008C 0E335914
	v_mfma_f32_16x16x32_fp8_fp8 v[140:143], a[22:23], v[174:175], v[140:143]// 000000003524: D3F3008C 0E335D16
	buffer_load_dword v30, s[20:23], 0 offen lds               // 00000000352C: E0511000 8005001E
	s_add_u32 m0, 0x700, s51                                   // 000000003534: 807C33FF 00000700
	v_mfma_f32_16x16x32_fp8_fp8 v[140:143], a[24:25], v[176:177], v[140:143]// 00000000353C: D3F3008C 0E336118
	v_mfma_f32_16x16x32_fp8_fp8 v[140:143], a[26:27], v[178:179], v[140:143]// 000000003544: D3F3008C 0E33651A
	buffer_load_dwordx4 a[76:79], v33, s[92:95], 0 offen offset:3072// 00000000354C: E05C1C00 80974C21
	v_mfma_f32_16x16x32_fp8_fp8 v[140:143], a[28:29], v[180:181], v[140:143]// 000000003554: D3F3008C 0E33691C
	v_mfma_f32_16x16x32_fp8_fp8 v[140:143], a[30:31], v[182:183], v[140:143]// 00000000355C: D3F3008C 0E336D1E
	buffer_load_dword v31, s[20:23], 0 offen lds               // 000000003564: E0511000 8005001F
	s_add_u32 m0, 0, s50                                       // 00000000356C: 807C3280
	s_waitcnt vmcnt(16)                                        // 000000003570: BF8C4F70
	v_mfma_f32_16x16x32_fp8_fp8 v[144:147], a[32:33], v[152:153], v[144:147]// 000000003574: D3F30090 0E433120
	v_mfma_f32_16x16x32_fp8_fp8 v[144:147], a[34:35], v[154:155], v[144:147]// 00000000357C: D3F30090 0E433522
	buffer_load_dwordx4 a[80:83], v34, s[92:95], 0 offen       // 000000003584: E05C1000 80975022
	v_mfma_f32_16x16x32_fp8_fp8 v[144:147], a[36:37], v[156:157], v[144:147]// 00000000358C: D3F30090 0E433924
	v_mfma_f32_16x16x32_fp8_fp8 v[144:147], a[38:39], v[158:159], v[144:147]// 000000003594: D3F30090 0E433D26
	v_mfma_f32_16x16x32_fp8_fp8 v[144:147], a[40:41], v[160:161], v[144:147]// 00000000359C: D3F30090 0E434128
	v_mfma_f32_16x16x32_fp8_fp8 v[144:147], a[42:43], v[162:163], v[144:147]// 0000000035A4: D3F30090 0E43452A
	buffer_load_dwordx4 a[84:87], v34, s[92:95], 0 offen offset:1024// 0000000035AC: E05C1400 80975422
	v_mfma_f32_16x16x32_fp8_fp8 v[144:147], a[44:45], v[164:165], v[144:147]// 0000000035B4: D3F30090 0E43492C
	v_mfma_f32_16x16x32_fp8_fp8 v[144:147], a[46:47], v[166:167], v[144:147]// 0000000035BC: D3F30090 0E434D2E
	v_mfma_f32_16x16x32_fp8_fp8 v[148:151], a[32:33], v[168:169], v[148:151]// 0000000035C4: D3F30094 0E535120
	v_mfma_f32_16x16x32_fp8_fp8 v[148:151], a[34:35], v[170:171], v[148:151]// 0000000035CC: D3F30094 0E535522
	buffer_load_dwordx4 a[88:91], v34, s[92:95], 0 offen offset:2048// 0000000035D4: E05C1800 80975822
	v_mfma_f32_16x16x32_fp8_fp8 v[148:151], a[36:37], v[172:173], v[148:151]// 0000000035DC: D3F30094 0E535924
	v_mfma_f32_16x16x32_fp8_fp8 v[148:151], a[38:39], v[174:175], v[148:151]// 0000000035E4: D3F30094 0E535D26
	v_mfma_f32_16x16x32_fp8_fp8 v[148:151], a[40:41], v[176:177], v[148:151]// 0000000035EC: D3F30094 0E536128
	v_mfma_f32_16x16x32_fp8_fp8 v[148:151], a[42:43], v[178:179], v[148:151]// 0000000035F4: D3F30094 0E53652A
	buffer_load_dwordx4 a[92:95], v34, s[92:95], 0 offen offset:3072// 0000000035FC: E05C1C00 80975C22
	v_mfma_f32_16x16x32_fp8_fp8 v[148:151], a[44:45], v[180:181], v[148:151]// 000000003604: D3F30094 0E53692C
	v_mfma_f32_16x16x32_fp8_fp8 v[148:151], a[46:47], v[182:183], v[148:151]// 00000000360C: D3F30094 0E536D2E
	s_waitcnt vmcnt(4)                                         // 000000003614: BF8C0F74
	s_barrier                                                  // 000000003618: BF8A0000
	v_mfma_f32_16x16x32_fp8_fp8 v[64:67], a[48:49], v[152:153], v[64:67]// 00000000361C: D3F30040 0D033130
	v_mfma_f32_16x16x32_fp8_fp8 v[64:67], a[50:51], v[154:155], v[64:67]// 000000003624: D3F30040 0D033532
	buffer_load_dwordx4 a[0:3], v32, s[24:27], 0 offen         // 00000000362C: E05C1000 80860020
	v_mfma_f32_16x16x32_fp8_fp8 v[64:67], a[52:53], v[156:157], v[64:67]// 000000003634: D3F30040 0D033934
	v_mfma_f32_16x16x32_fp8_fp8 v[64:67], a[54:55], v[158:159], v[64:67]// 00000000363C: D3F30040 0D033D36
	v_mfma_f32_16x16x32_fp8_fp8 v[64:67], a[56:57], v[160:161], v[64:67]// 000000003644: D3F30040 0D034138
	v_mfma_f32_16x16x32_fp8_fp8 v[64:67], a[58:59], v[162:163], v[64:67]// 00000000364C: D3F30040 0D03453A
	buffer_load_dwordx4 a[4:7], v32, s[24:27], 0 offen offset:1024// 000000003654: E05C1400 80860420
	v_mfma_f32_16x16x32_fp8_fp8 v[64:67], a[60:61], v[164:165], v[64:67]// 00000000365C: D3F30040 0D03493C
	v_mfma_f32_16x16x32_fp8_fp8 v[64:67], a[62:63], v[166:167], v[64:67]// 000000003664: D3F30040 0D034D3E
	v_mfma_f32_16x16x32_fp8_fp8 v[68:71], a[48:49], v[168:169], v[68:71]// 00000000366C: D3F30044 0D135130
	v_mfma_f32_16x16x32_fp8_fp8 v[68:71], a[50:51], v[170:171], v[68:71]// 000000003674: D3F30044 0D135532
	buffer_load_dwordx4 a[8:11], v32, s[24:27], 0 offen offset:2048// 00000000367C: E05C1800 80860820
	v_mfma_f32_16x16x32_fp8_fp8 v[68:71], a[52:53], v[172:173], v[68:71]// 000000003684: D3F30044 0D135934
	v_mfma_f32_16x16x32_fp8_fp8 v[68:71], a[54:55], v[174:175], v[68:71]// 00000000368C: D3F30044 0D135D36
	v_mfma_f32_16x16x32_fp8_fp8 v[68:71], a[56:57], v[176:177], v[68:71]// 000000003694: D3F30044 0D136138
	v_mfma_f32_16x16x32_fp8_fp8 v[68:71], a[58:59], v[178:179], v[68:71]// 00000000369C: D3F30044 0D13653A
	buffer_load_dwordx4 a[12:15], v32, s[24:27], 0 offen offset:3072// 0000000036A4: E05C1C00 80860C20
	v_mfma_f32_16x16x32_fp8_fp8 v[68:71], a[60:61], v[180:181], v[68:71]// 0000000036AC: D3F30044 0D13693C
	v_mfma_f32_16x16x32_fp8_fp8 v[68:71], a[62:63], v[182:183], v[68:71]// 0000000036B4: D3F30044 0D136D3E
	v_mfma_f32_16x16x32_fp8_fp8 v[72:75], a[64:65], v[152:153], v[72:75]// 0000000036BC: D3F30048 0D233140
	v_mfma_f32_16x16x32_fp8_fp8 v[72:75], a[66:67], v[154:155], v[72:75]// 0000000036C4: D3F30048 0D233542
	buffer_load_dwordx4 a[16:19], v33, s[24:27], 0 offen       // 0000000036CC: E05C1000 80861021
	v_mfma_f32_16x16x32_fp8_fp8 v[72:75], a[68:69], v[156:157], v[72:75]// 0000000036D4: D3F30048 0D233944
	v_mfma_f32_16x16x32_fp8_fp8 v[72:75], a[70:71], v[158:159], v[72:75]// 0000000036DC: D3F30048 0D233D46
	ds_read_b128 v[184:187], v2 offset:8320                    // 0000000036E4: D9FE2080 B8000002
	v_mfma_f32_16x16x32_fp8_fp8 v[72:75], a[72:73], v[160:161], v[72:75]// 0000000036EC: D3F30048 0D234148
	v_mfma_f32_16x16x32_fp8_fp8 v[72:75], a[74:75], v[162:163], v[72:75]// 0000000036F4: D3F30048 0D23454A
	buffer_load_dwordx4 a[20:23], v33, s[24:27], 0 offen offset:1024// 0000000036FC: E05C1400 80861421
	v_mfma_f32_16x16x32_fp8_fp8 v[72:75], a[76:77], v[164:165], v[72:75]// 000000003704: D3F30048 0D23494C
	v_mfma_f32_16x16x32_fp8_fp8 v[72:75], a[78:79], v[166:167], v[72:75]// 00000000370C: D3F30048 0D234D4E
	ds_read_b128 v[188:191], v2 offset:8384                    // 000000003714: D9FE20C0 BC000002
	v_mfma_f32_16x16x32_fp8_fp8 v[76:79], a[64:65], v[168:169], v[76:79]// 00000000371C: D3F3004C 0D335140
	v_mfma_f32_16x16x32_fp8_fp8 v[76:79], a[66:67], v[170:171], v[76:79]// 000000003724: D3F3004C 0D335542
	buffer_load_dwordx4 a[24:27], v33, s[24:27], 0 offen offset:2048// 00000000372C: E05C1800 80861821
	v_mfma_f32_16x16x32_fp8_fp8 v[76:79], a[68:69], v[172:173], v[76:79]// 000000003734: D3F3004C 0D335944
	v_mfma_f32_16x16x32_fp8_fp8 v[76:79], a[70:71], v[174:175], v[76:79]// 00000000373C: D3F3004C 0D335D46
	ds_read_b128 v[192:195], v2 offset:8448                    // 000000003744: D9FE2100 C0000002
	v_mfma_f32_16x16x32_fp8_fp8 v[76:79], a[72:73], v[176:177], v[76:79]// 00000000374C: D3F3004C 0D336148
	v_mfma_f32_16x16x32_fp8_fp8 v[76:79], a[74:75], v[178:179], v[76:79]// 000000003754: D3F3004C 0D33654A
	buffer_load_dwordx4 a[28:31], v33, s[24:27], 0 offen offset:3072// 00000000375C: E05C1C00 80861C21
	v_mfma_f32_16x16x32_fp8_fp8 v[76:79], a[76:77], v[180:181], v[76:79]// 000000003764: D3F3004C 0D33694C
	v_mfma_f32_16x16x32_fp8_fp8 v[76:79], a[78:79], v[182:183], v[76:79]// 00000000376C: D3F3004C 0D336D4E
	ds_read_b128 v[196:199], v2 offset:8512                    // 000000003774: D9FE2140 C4000002
	s_waitcnt vmcnt(8)                                         // 00000000377C: BF8C0F78
	v_mfma_f32_16x16x32_fp8_fp8 v[80:83], a[80:81], v[152:153], v[80:83]// 000000003780: D3F30050 0D433150
	v_mfma_f32_16x16x32_fp8_fp8 v[80:83], a[82:83], v[154:155], v[80:83]// 000000003788: D3F30050 0D433552
	buffer_load_dwordx4 a[32:35], v34, s[24:27], 0 offen       // 000000003790: E05C1000 80862022
	v_mfma_f32_16x16x32_fp8_fp8 v[80:83], a[84:85], v[156:157], v[80:83]// 000000003798: D3F30050 0D433954
	v_mfma_f32_16x16x32_fp8_fp8 v[80:83], a[86:87], v[158:159], v[80:83]// 0000000037A0: D3F30050 0D433D56
	ds_read_b128 v[200:203], v2 offset:9344                    // 0000000037A8: D9FE2480 C8000002
	v_mfma_f32_16x16x32_fp8_fp8 v[80:83], a[88:89], v[160:161], v[80:83]// 0000000037B0: D3F30050 0D434158
	v_mfma_f32_16x16x32_fp8_fp8 v[80:83], a[90:91], v[162:163], v[80:83]// 0000000037B8: D3F30050 0D43455A
	buffer_load_dwordx4 a[36:39], v34, s[24:27], 0 offen offset:1024// 0000000037C0: E05C1400 80862422
	v_mfma_f32_16x16x32_fp8_fp8 v[80:83], a[92:93], v[164:165], v[80:83]// 0000000037C8: D3F30050 0D43495C
	v_mfma_f32_16x16x32_fp8_fp8 v[80:83], a[94:95], v[166:167], v[80:83]// 0000000037D0: D3F30050 0D434D5E
	ds_read_b128 v[204:207], v2 offset:9408                    // 0000000037D8: D9FE24C0 CC000002
	v_mfma_f32_16x16x32_fp8_fp8 v[84:87], a[80:81], v[168:169], v[84:87]// 0000000037E0: D3F30054 0D535150
	v_mfma_f32_16x16x32_fp8_fp8 v[84:87], a[82:83], v[170:171], v[84:87]// 0000000037E8: D3F30054 0D535552
	buffer_load_dwordx4 a[40:43], v34, s[24:27], 0 offen offset:2048// 0000000037F0: E05C1800 80862822
	v_mfma_f32_16x16x32_fp8_fp8 v[84:87], a[84:85], v[172:173], v[84:87]// 0000000037F8: D3F30054 0D535954
	v_mfma_f32_16x16x32_fp8_fp8 v[84:87], a[86:87], v[174:175], v[84:87]// 000000003800: D3F30054 0D535D56
	ds_read_b128 v[208:211], v2 offset:9472                    // 000000003808: D9FE2500 D0000002
	v_mfma_f32_16x16x32_fp8_fp8 v[84:87], a[88:89], v[176:177], v[84:87]// 000000003810: D3F30054 0D536158
	v_mfma_f32_16x16x32_fp8_fp8 v[84:87], a[90:91], v[178:179], v[84:87]// 000000003818: D3F30054 0D53655A
	buffer_load_dwordx4 a[44:47], v34, s[24:27], 0 offen offset:3072// 000000003820: E05C1C00 80862C22
	v_mfma_f32_16x16x32_fp8_fp8 v[84:87], a[92:93], v[180:181], v[84:87]// 000000003828: D3F30054 0D53695C
	v_mfma_f32_16x16x32_fp8_fp8 v[84:87], a[94:95], v[182:183], v[84:87]// 000000003830: D3F30054 0D536D5E
	ds_read_b128 v[212:215], v2 offset:9536                    // 000000003838: D9FE2540 D4000002
	s_add_u32 s60, 0x200, s80                                  // 000000003840: 803C50FF 00000200
	s_cmp_lt_u32 s60, s81                                      // 000000003848: BF0A513C
	s_cselect_b32 s57, s57, 0                                  // 00000000384C: 85398039
	s_add_u32 s60, 0x200, s80                                  // 000000003850: 803C50FF 00000200
	s_cmp_lt_u32 s60, s81                                      // 000000003858: BF0A513C
	s_cselect_b32 s58, s58, 0                                  // 00000000385C: 853A803A
	s_add_u32 s20, s57, s20                                    // 000000003860: 80141439
	s_addc_u32 s21, 0, s21                                     // 000000003864: 82151580
	s_add_u32 s24, s58, s24                                    // 000000003868: 8018183A
	s_addc_u32 s25, 0, s25                                     // 00000000386C: 82191980
	s_add_u32 s92, s90, s92                                    // 000000003870: 805C5C5A
	s_addc_u32 s93, 0, s93                                     // 000000003874: 825D5D80
	s_addk_i32 s80, 0x100                                      // 000000003878: B7500100
	s_cmp_lt_i32 s80, s81                                      // 00000000387C: BF045150
	s_cbranch_scc0 label_0498                                  // 000000003880: BF840137
	s_waitcnt vmcnt(4) lgkmcnt(0)                              // 000000003884: BF8C0074
	s_barrier                                                  // 000000003888: BF8A0000
	v_mfma_f32_16x16x32_fp8_fp8 v[128:131], a[0:1], v[184:185], v[128:131]// 00000000388C: D3F30080 0E037100
	v_mfma_f32_16x16x32_fp8_fp8 v[128:131], a[2:3], v[186:187], v[128:131]// 000000003894: D3F30080 0E037502
	buffer_load_dwordx4 a[48:51], v32, s[92:95], 0 offen       // 00000000389C: E05C1000 80973020
	v_mfma_f32_16x16x32_fp8_fp8 v[128:131], a[4:5], v[188:189], v[128:131]// 0000000038A4: D3F30080 0E037904
	v_mfma_f32_16x16x32_fp8_fp8 v[128:131], a[6:7], v[190:191], v[128:131]// 0000000038AC: D3F30080 0E037D06
	buffer_load_dword v24, s[20:23], 0 offen lds               // 0000000038B4: E0511000 80050018
	s_add_u32 m0, 0x100, s50                                   // 0000000038BC: 807C32FF 00000100
	v_mfma_f32_16x16x32_fp8_fp8 v[128:131], a[8:9], v[192:193], v[128:131]// 0000000038C4: D3F30080 0E038108
	v_mfma_f32_16x16x32_fp8_fp8 v[128:131], a[10:11], v[194:195], v[128:131]// 0000000038CC: D3F30080 0E03850A
	buffer_load_dwordx4 a[52:55], v32, s[92:95], 0 offen offset:1024// 0000000038D4: E05C1400 80973420
	v_mfma_f32_16x16x32_fp8_fp8 v[128:131], a[12:13], v[196:197], v[128:131]// 0000000038DC: D3F30080 0E03890C
	v_mfma_f32_16x16x32_fp8_fp8 v[128:131], a[14:15], v[198:199], v[128:131]// 0000000038E4: D3F30080 0E038D0E
	buffer_load_dword v25, s[20:23], 0 offen lds               // 0000000038EC: E0511000 80050019
	s_add_u32 m0, 0x200, s50                                   // 0000000038F4: 807C32FF 00000200
	v_mfma_f32_16x16x32_fp8_fp8 v[132:135], a[0:1], v[200:201], v[132:135]// 0000000038FC: D3F30084 0E139100
	v_mfma_f32_16x16x32_fp8_fp8 v[132:135], a[2:3], v[202:203], v[132:135]// 000000003904: D3F30084 0E139502
	buffer_load_dwordx4 a[56:59], v32, s[92:95], 0 offen offset:2048// 00000000390C: E05C1800 80973820
	v_mfma_f32_16x16x32_fp8_fp8 v[132:135], a[4:5], v[204:205], v[132:135]// 000000003914: D3F30084 0E139904
	v_mfma_f32_16x16x32_fp8_fp8 v[132:135], a[6:7], v[206:207], v[132:135]// 00000000391C: D3F30084 0E139D06
	buffer_load_dword v26, s[20:23], 0 offen lds               // 000000003924: E0511000 8005001A
	s_add_u32 m0, 0x300, s50                                   // 00000000392C: 807C32FF 00000300
	v_mfma_f32_16x16x32_fp8_fp8 v[132:135], a[8:9], v[208:209], v[132:135]// 000000003934: D3F30084 0E13A108
	v_mfma_f32_16x16x32_fp8_fp8 v[132:135], a[10:11], v[210:211], v[132:135]// 00000000393C: D3F30084 0E13A50A
	buffer_load_dwordx4 a[60:63], v32, s[92:95], 0 offen offset:3072// 000000003944: E05C1C00 80973C20
	v_mfma_f32_16x16x32_fp8_fp8 v[132:135], a[12:13], v[212:213], v[132:135]// 00000000394C: D3F30084 0E13A90C
	v_mfma_f32_16x16x32_fp8_fp8 v[132:135], a[14:15], v[214:215], v[132:135]// 000000003954: D3F30084 0E13AD0E
	buffer_load_dword v27, s[20:23], 0 offen lds               // 00000000395C: E0511000 8005001B
	s_add_u32 m0, 0x400, s50                                   // 000000003964: 807C32FF 00000400
	v_mfma_f32_16x16x32_fp8_fp8 v[136:139], a[16:17], v[184:185], v[136:139]// 00000000396C: D3F30088 0E237110
	v_mfma_f32_16x16x32_fp8_fp8 v[136:139], a[18:19], v[186:187], v[136:139]// 000000003974: D3F30088 0E237512
	buffer_load_dwordx4 a[64:67], v33, s[92:95], 0 offen       // 00000000397C: E05C1000 80974021
	v_mfma_f32_16x16x32_fp8_fp8 v[136:139], a[20:21], v[188:189], v[136:139]// 000000003984: D3F30088 0E237914
	v_mfma_f32_16x16x32_fp8_fp8 v[136:139], a[22:23], v[190:191], v[136:139]// 00000000398C: D3F30088 0E237D16
	buffer_load_dword v28, s[20:23], 0 offen lds               // 000000003994: E0511000 8005001C
	s_add_u32 m0, 0x500, s50                                   // 00000000399C: 807C32FF 00000500
	v_mfma_f32_16x16x32_fp8_fp8 v[136:139], a[24:25], v[192:193], v[136:139]// 0000000039A4: D3F30088 0E238118
	v_mfma_f32_16x16x32_fp8_fp8 v[136:139], a[26:27], v[194:195], v[136:139]// 0000000039AC: D3F30088 0E23851A
	buffer_load_dwordx4 a[68:71], v33, s[92:95], 0 offen offset:1024// 0000000039B4: E05C1400 80974421
	v_mfma_f32_16x16x32_fp8_fp8 v[136:139], a[28:29], v[196:197], v[136:139]// 0000000039BC: D3F30088 0E23891C
	v_mfma_f32_16x16x32_fp8_fp8 v[136:139], a[30:31], v[198:199], v[136:139]// 0000000039C4: D3F30088 0E238D1E
	buffer_load_dword v29, s[20:23], 0 offen lds               // 0000000039CC: E0511000 8005001D
	s_add_u32 m0, 0x600, s50                                   // 0000000039D4: 807C32FF 00000600
	v_mfma_f32_16x16x32_fp8_fp8 v[140:143], a[16:17], v[200:201], v[140:143]// 0000000039DC: D3F3008C 0E339110
	v_mfma_f32_16x16x32_fp8_fp8 v[140:143], a[18:19], v[202:203], v[140:143]// 0000000039E4: D3F3008C 0E339512
	buffer_load_dwordx4 a[72:75], v33, s[92:95], 0 offen offset:2048// 0000000039EC: E05C1800 80974821
	v_mfma_f32_16x16x32_fp8_fp8 v[140:143], a[20:21], v[204:205], v[140:143]// 0000000039F4: D3F3008C 0E339914
	v_mfma_f32_16x16x32_fp8_fp8 v[140:143], a[22:23], v[206:207], v[140:143]// 0000000039FC: D3F3008C 0E339D16
	buffer_load_dword v30, s[20:23], 0 offen lds               // 000000003A04: E0511000 8005001E
	s_add_u32 m0, 0x700, s50                                   // 000000003A0C: 807C32FF 00000700
	v_mfma_f32_16x16x32_fp8_fp8 v[140:143], a[24:25], v[208:209], v[140:143]// 000000003A14: D3F3008C 0E33A118
	v_mfma_f32_16x16x32_fp8_fp8 v[140:143], a[26:27], v[210:211], v[140:143]// 000000003A1C: D3F3008C 0E33A51A
	buffer_load_dwordx4 a[76:79], v33, s[92:95], 0 offen offset:3072// 000000003A24: E05C1C00 80974C21
	v_mfma_f32_16x16x32_fp8_fp8 v[140:143], a[28:29], v[212:213], v[140:143]// 000000003A2C: D3F3008C 0E33A91C
	v_mfma_f32_16x16x32_fp8_fp8 v[140:143], a[30:31], v[214:215], v[140:143]// 000000003A34: D3F3008C 0E33AD1E
	buffer_load_dword v31, s[20:23], 0 offen lds               // 000000003A3C: E0511000 8005001F
	s_add_u32 m0, 0, s51                                       // 000000003A44: 807C3380
	s_waitcnt vmcnt(16)                                        // 000000003A48: BF8C4F70
	v_mfma_f32_16x16x32_fp8_fp8 v[144:147], a[32:33], v[184:185], v[144:147]// 000000003A4C: D3F30090 0E437120
	v_mfma_f32_16x16x32_fp8_fp8 v[144:147], a[34:35], v[186:187], v[144:147]// 000000003A54: D3F30090 0E437522
	buffer_load_dwordx4 a[80:83], v34, s[92:95], 0 offen       // 000000003A5C: E05C1000 80975022
	v_mfma_f32_16x16x32_fp8_fp8 v[144:147], a[36:37], v[188:189], v[144:147]// 000000003A64: D3F30090 0E437924
	v_mfma_f32_16x16x32_fp8_fp8 v[144:147], a[38:39], v[190:191], v[144:147]// 000000003A6C: D3F30090 0E437D26
	v_mfma_f32_16x16x32_fp8_fp8 v[144:147], a[40:41], v[192:193], v[144:147]// 000000003A74: D3F30090 0E438128
	v_mfma_f32_16x16x32_fp8_fp8 v[144:147], a[42:43], v[194:195], v[144:147]// 000000003A7C: D3F30090 0E43852A
	buffer_load_dwordx4 a[84:87], v34, s[92:95], 0 offen offset:1024// 000000003A84: E05C1400 80975422
	v_mfma_f32_16x16x32_fp8_fp8 v[144:147], a[44:45], v[196:197], v[144:147]// 000000003A8C: D3F30090 0E43892C
	v_mfma_f32_16x16x32_fp8_fp8 v[144:147], a[46:47], v[198:199], v[144:147]// 000000003A94: D3F30090 0E438D2E
	v_mfma_f32_16x16x32_fp8_fp8 v[148:151], a[32:33], v[200:201], v[148:151]// 000000003A9C: D3F30094 0E539120
	v_mfma_f32_16x16x32_fp8_fp8 v[148:151], a[34:35], v[202:203], v[148:151]// 000000003AA4: D3F30094 0E539522
	buffer_load_dwordx4 a[88:91], v34, s[92:95], 0 offen offset:2048// 000000003AAC: E05C1800 80975822
	v_mfma_f32_16x16x32_fp8_fp8 v[148:151], a[36:37], v[204:205], v[148:151]// 000000003AB4: D3F30094 0E539924
	v_mfma_f32_16x16x32_fp8_fp8 v[148:151], a[38:39], v[206:207], v[148:151]// 000000003ABC: D3F30094 0E539D26
	v_mfma_f32_16x16x32_fp8_fp8 v[148:151], a[40:41], v[208:209], v[148:151]// 000000003AC4: D3F30094 0E53A128
	v_mfma_f32_16x16x32_fp8_fp8 v[148:151], a[42:43], v[210:211], v[148:151]// 000000003ACC: D3F30094 0E53A52A
	buffer_load_dwordx4 a[92:95], v34, s[92:95], 0 offen offset:3072// 000000003AD4: E05C1C00 80975C22
	v_mfma_f32_16x16x32_fp8_fp8 v[148:151], a[44:45], v[212:213], v[148:151]// 000000003ADC: D3F30094 0E53A92C
	v_mfma_f32_16x16x32_fp8_fp8 v[148:151], a[46:47], v[214:215], v[148:151]// 000000003AE4: D3F30094 0E53AD2E
	s_waitcnt vmcnt(4)                                         // 000000003AEC: BF8C0F74
	s_barrier                                                  // 000000003AF0: BF8A0000
	v_mfma_f32_16x16x32_fp8_fp8 v[64:67], a[48:49], v[184:185], v[64:67]// 000000003AF4: D3F30040 0D037130
	v_mfma_f32_16x16x32_fp8_fp8 v[64:67], a[50:51], v[186:187], v[64:67]// 000000003AFC: D3F30040 0D037532
	buffer_load_dwordx4 a[0:3], v32, s[24:27], 0 offen         // 000000003B04: E05C1000 80860020
	v_mfma_f32_16x16x32_fp8_fp8 v[64:67], a[52:53], v[188:189], v[64:67]// 000000003B0C: D3F30040 0D037934
	v_mfma_f32_16x16x32_fp8_fp8 v[64:67], a[54:55], v[190:191], v[64:67]// 000000003B14: D3F30040 0D037D36
	v_mfma_f32_16x16x32_fp8_fp8 v[64:67], a[56:57], v[192:193], v[64:67]// 000000003B1C: D3F30040 0D038138
	v_mfma_f32_16x16x32_fp8_fp8 v[64:67], a[58:59], v[194:195], v[64:67]// 000000003B24: D3F30040 0D03853A
	buffer_load_dwordx4 a[4:7], v32, s[24:27], 0 offen offset:1024// 000000003B2C: E05C1400 80860420
	v_mfma_f32_16x16x32_fp8_fp8 v[64:67], a[60:61], v[196:197], v[64:67]// 000000003B34: D3F30040 0D03893C
	v_mfma_f32_16x16x32_fp8_fp8 v[64:67], a[62:63], v[198:199], v[64:67]// 000000003B3C: D3F30040 0D038D3E
	v_mfma_f32_16x16x32_fp8_fp8 v[68:71], a[48:49], v[200:201], v[68:71]// 000000003B44: D3F30044 0D139130
	v_mfma_f32_16x16x32_fp8_fp8 v[68:71], a[50:51], v[202:203], v[68:71]// 000000003B4C: D3F30044 0D139532
	buffer_load_dwordx4 a[8:11], v32, s[24:27], 0 offen offset:2048// 000000003B54: E05C1800 80860820
	v_mfma_f32_16x16x32_fp8_fp8 v[68:71], a[52:53], v[204:205], v[68:71]// 000000003B5C: D3F30044 0D139934
	v_mfma_f32_16x16x32_fp8_fp8 v[68:71], a[54:55], v[206:207], v[68:71]// 000000003B64: D3F30044 0D139D36
	v_mfma_f32_16x16x32_fp8_fp8 v[68:71], a[56:57], v[208:209], v[68:71]// 000000003B6C: D3F30044 0D13A138
	v_mfma_f32_16x16x32_fp8_fp8 v[68:71], a[58:59], v[210:211], v[68:71]// 000000003B74: D3F30044 0D13A53A
	buffer_load_dwordx4 a[12:15], v32, s[24:27], 0 offen offset:3072// 000000003B7C: E05C1C00 80860C20
	v_mfma_f32_16x16x32_fp8_fp8 v[68:71], a[60:61], v[212:213], v[68:71]// 000000003B84: D3F30044 0D13A93C
	v_mfma_f32_16x16x32_fp8_fp8 v[68:71], a[62:63], v[214:215], v[68:71]// 000000003B8C: D3F30044 0D13AD3E
	v_mfma_f32_16x16x32_fp8_fp8 v[72:75], a[64:65], v[184:185], v[72:75]// 000000003B94: D3F30048 0D237140
	v_mfma_f32_16x16x32_fp8_fp8 v[72:75], a[66:67], v[186:187], v[72:75]// 000000003B9C: D3F30048 0D237542
	buffer_load_dwordx4 a[16:19], v33, s[24:27], 0 offen       // 000000003BA4: E05C1000 80861021
	v_mfma_f32_16x16x32_fp8_fp8 v[72:75], a[68:69], v[188:189], v[72:75]// 000000003BAC: D3F30048 0D237944
	v_mfma_f32_16x16x32_fp8_fp8 v[72:75], a[70:71], v[190:191], v[72:75]// 000000003BB4: D3F30048 0D237D46
	ds_read_b128 v[152:155], v2                                // 000000003BBC: D9FE0000 98000002
	v_mfma_f32_16x16x32_fp8_fp8 v[72:75], a[72:73], v[192:193], v[72:75]// 000000003BC4: D3F30048 0D238148
	v_mfma_f32_16x16x32_fp8_fp8 v[72:75], a[74:75], v[194:195], v[72:75]// 000000003BCC: D3F30048 0D23854A
	buffer_load_dwordx4 a[20:23], v33, s[24:27], 0 offen offset:1024// 000000003BD4: E05C1400 80861421
	v_mfma_f32_16x16x32_fp8_fp8 v[72:75], a[76:77], v[196:197], v[72:75]// 000000003BDC: D3F30048 0D23894C
	v_mfma_f32_16x16x32_fp8_fp8 v[72:75], a[78:79], v[198:199], v[72:75]// 000000003BE4: D3F30048 0D238D4E
	ds_read_b128 v[156:159], v2 offset:64                      // 000000003BEC: D9FE0040 9C000002
	v_mfma_f32_16x16x32_fp8_fp8 v[76:79], a[64:65], v[200:201], v[76:79]// 000000003BF4: D3F3004C 0D339140
	v_mfma_f32_16x16x32_fp8_fp8 v[76:79], a[66:67], v[202:203], v[76:79]// 000000003BFC: D3F3004C 0D339542
	buffer_load_dwordx4 a[24:27], v33, s[24:27], 0 offen offset:2048// 000000003C04: E05C1800 80861821
	v_mfma_f32_16x16x32_fp8_fp8 v[76:79], a[68:69], v[204:205], v[76:79]// 000000003C0C: D3F3004C 0D339944
	v_mfma_f32_16x16x32_fp8_fp8 v[76:79], a[70:71], v[206:207], v[76:79]// 000000003C14: D3F3004C 0D339D46
	ds_read_b128 v[160:163], v2 offset:128                     // 000000003C1C: D9FE0080 A0000002
	v_mfma_f32_16x16x32_fp8_fp8 v[76:79], a[72:73], v[208:209], v[76:79]// 000000003C24: D3F3004C 0D33A148
	v_mfma_f32_16x16x32_fp8_fp8 v[76:79], a[74:75], v[210:211], v[76:79]// 000000003C2C: D3F3004C 0D33A54A
	buffer_load_dwordx4 a[28:31], v33, s[24:27], 0 offen offset:3072// 000000003C34: E05C1C00 80861C21
	v_mfma_f32_16x16x32_fp8_fp8 v[76:79], a[76:77], v[212:213], v[76:79]// 000000003C3C: D3F3004C 0D33A94C
	v_mfma_f32_16x16x32_fp8_fp8 v[76:79], a[78:79], v[214:215], v[76:79]// 000000003C44: D3F3004C 0D33AD4E
	ds_read_b128 v[164:167], v2 offset:192                     // 000000003C4C: D9FE00C0 A4000002
	s_waitcnt vmcnt(8)                                         // 000000003C54: BF8C0F78
	v_mfma_f32_16x16x32_fp8_fp8 v[80:83], a[80:81], v[184:185], v[80:83]// 000000003C58: D3F30050 0D437150
	v_mfma_f32_16x16x32_fp8_fp8 v[80:83], a[82:83], v[186:187], v[80:83]// 000000003C60: D3F30050 0D437552
	buffer_load_dwordx4 a[32:35], v34, s[24:27], 0 offen       // 000000003C68: E05C1000 80862022
	v_mfma_f32_16x16x32_fp8_fp8 v[80:83], a[84:85], v[188:189], v[80:83]// 000000003C70: D3F30050 0D437954
	v_mfma_f32_16x16x32_fp8_fp8 v[80:83], a[86:87], v[190:191], v[80:83]// 000000003C78: D3F30050 0D437D56
	ds_read_b128 v[168:171], v2 offset:1024                    // 000000003C80: D9FE0400 A8000002
	v_mfma_f32_16x16x32_fp8_fp8 v[80:83], a[88:89], v[192:193], v[80:83]// 000000003C88: D3F30050 0D438158
	v_mfma_f32_16x16x32_fp8_fp8 v[80:83], a[90:91], v[194:195], v[80:83]// 000000003C90: D3F30050 0D43855A
	buffer_load_dwordx4 a[36:39], v34, s[24:27], 0 offen offset:1024// 000000003C98: E05C1400 80862422
	v_mfma_f32_16x16x32_fp8_fp8 v[80:83], a[92:93], v[196:197], v[80:83]// 000000003CA0: D3F30050 0D43895C
	v_mfma_f32_16x16x32_fp8_fp8 v[80:83], a[94:95], v[198:199], v[80:83]// 000000003CA8: D3F30050 0D438D5E
	ds_read_b128 v[172:175], v2 offset:1088                    // 000000003CB0: D9FE0440 AC000002
	v_mfma_f32_16x16x32_fp8_fp8 v[84:87], a[80:81], v[200:201], v[84:87]// 000000003CB8: D3F30054 0D539150
	v_mfma_f32_16x16x32_fp8_fp8 v[84:87], a[82:83], v[202:203], v[84:87]// 000000003CC0: D3F30054 0D539552
	buffer_load_dwordx4 a[40:43], v34, s[24:27], 0 offen offset:2048// 000000003CC8: E05C1800 80862822
	v_mfma_f32_16x16x32_fp8_fp8 v[84:87], a[84:85], v[204:205], v[84:87]// 000000003CD0: D3F30054 0D539954
	v_mfma_f32_16x16x32_fp8_fp8 v[84:87], a[86:87], v[206:207], v[84:87]// 000000003CD8: D3F30054 0D539D56
	ds_read_b128 v[176:179], v2 offset:1152                    // 000000003CE0: D9FE0480 B0000002
	v_mfma_f32_16x16x32_fp8_fp8 v[84:87], a[88:89], v[208:209], v[84:87]// 000000003CE8: D3F30054 0D53A158
	v_mfma_f32_16x16x32_fp8_fp8 v[84:87], a[90:91], v[210:211], v[84:87]// 000000003CF0: D3F30054 0D53A55A
	buffer_load_dwordx4 a[44:47], v34, s[24:27], 0 offen offset:3072// 000000003CF8: E05C1C00 80862C22
	v_mfma_f32_16x16x32_fp8_fp8 v[84:87], a[92:93], v[212:213], v[84:87]// 000000003D00: D3F30054 0D53A95C
	v_mfma_f32_16x16x32_fp8_fp8 v[84:87], a[94:95], v[214:215], v[84:87]// 000000003D08: D3F30054 0D53AD5E
	ds_read_b128 v[180:183], v2 offset:1216                    // 000000003D10: D9FE04C0 B4000002
	s_add_u32 s60, 0x200, s80                                  // 000000003D18: 803C50FF 00000200
	s_cmp_lt_u32 s60, s81                                      // 000000003D20: BF0A513C
	s_cselect_b32 s57, s57, 0                                  // 000000003D24: 85398039
	s_add_u32 s60, 0x200, s80                                  // 000000003D28: 803C50FF 00000200
	s_cmp_lt_u32 s60, s81                                      // 000000003D30: BF0A513C
	s_cselect_b32 s58, s58, 0                                  // 000000003D34: 853A803A
	s_add_u32 s20, s57, s20                                    // 000000003D38: 80141439
	s_addc_u32 s21, 0, s21                                     // 000000003D3C: 82151580
	s_add_u32 s24, s58, s24                                    // 000000003D40: 8018183A
	s_addc_u32 s25, 0, s25                                     // 000000003D44: 82191980
	s_add_u32 s92, s90, s92                                    // 000000003D48: 805C5C5A
	s_addc_u32 s93, 0, s93                                     // 000000003D4C: 825D5D80
	s_addk_i32 s80, 0x100                                      // 000000003D50: B7500100
	s_cmp_lt_i32 s80, s81                                      // 000000003D54: BF045150
	s_cbranch_scc0 label_0498                                  // 000000003D58: BF840001
	s_branch label_022B                                        // 000000003D5C: BF82FD93

0000000000003d60 <label_0498>:
	s_mov_b32 s36, -1                                          // 000000003D60: BEA400C1
	s_mov_b32 s37, -1                                          // 000000003D64: BEA500C1
	s_mov_b64 s[60:61], 0                                      // 000000003D68: BEBC0180
	s_cmp_lt_u32 s82, s66                                      // 000000003D6C: BF0A4252
	s_cselect_b64 s[20:21], s[36:37], s[60:61]                 // 000000003D70: 85943C24
	s_cmp_lt_u32 s83, s66                                      // 000000003D74: BF0A4253
	s_cselect_b64 s[22:23], s[36:37], s[60:61]                 // 000000003D78: 85963C24
	s_cmp_lt_u32 s84, s66                                      // 000000003D7C: BF0A4254
	s_cselect_b64 s[24:25], s[36:37], s[60:61]                 // 000000003D80: 85983C24
	s_cmp_lt_u32 s85, s66                                      // 000000003D84: BF0A4255
	s_cselect_b64 s[26:27], s[36:37], s[60:61]                 // 000000003D88: 859A3C24
	s_cmp_lt_u32 s86, s66                                      // 000000003D8C: BF0A4256
	s_cselect_b64 s[28:29], s[36:37], s[60:61]                 // 000000003D90: 859C3C24
	s_cmp_lt_u32 s87, s66                                      // 000000003D94: BF0A4257
	s_cselect_b64 s[30:31], s[36:37], s[60:61]                 // 000000003D98: 859E3C24
	s_cmp_lt_u32 s88, s66                                      // 000000003D9C: BF0A4258
	s_cselect_b64 s[32:33], s[36:37], s[60:61]                 // 000000003DA0: 85A03C24
	s_cmp_lt_u32 s89, s66                                      // 000000003DA4: BF0A4259
	s_cselect_b64 s[34:35], s[36:37], s[60:61]                 // 000000003DA8: 85A23C24
	v_mul_f32_e32 v128, v13, v128                              // 000000003DAC: 0B01010D
	v_mul_f32_e32 v128, v17, v128                              // 000000003DB0: 0B010111
	v_mul_f32_e32 v129, v13, v129                              // 000000003DB4: 0B03030D
	v_mul_f32_e32 v129, v17, v129                              // 000000003DB8: 0B030311
	v_mul_f32_e32 v130, v13, v130                              // 000000003DBC: 0B05050D
	v_mul_f32_e32 v130, v17, v130                              // 000000003DC0: 0B050511
	v_mul_f32_e32 v131, v13, v131                              // 000000003DC4: 0B07070D
	v_mul_f32_e32 v131, v17, v131                              // 000000003DC8: 0B070711
	v_mul_f32_dpp v128, v15, v128 row_newbcast:0 row_mask:0xf bank_mask:0xf// 000000003DCC: 0B0100FA FF01500F
	v_mul_f32_dpp v129, v15, v129 row_newbcast:1 row_mask:0xf bank_mask:0xf// 000000003DD4: 0B0302FA FF01510F
	v_mul_f32_dpp v130, v15, v130 row_newbcast:2 row_mask:0xf bank_mask:0xf// 000000003DDC: 0B0504FA FF01520F
	v_mul_f32_dpp v131, v15, v131 row_newbcast:3 row_mask:0xf bank_mask:0xf// 000000003DE4: 0B0706FA FF01530F
	v_mul_f32_e32 v132, v14, v132                              // 000000003DEC: 0B09090E
	v_mul_f32_e32 v132, v18, v132                              // 000000003DF0: 0B090912
	v_mul_f32_e32 v133, v14, v133                              // 000000003DF4: 0B0B0B0E
	v_mul_f32_e32 v133, v18, v133                              // 000000003DF8: 0B0B0B12
	v_mul_f32_e32 v134, v14, v134                              // 000000003DFC: 0B0D0D0E
	v_mul_f32_e32 v134, v18, v134                              // 000000003E00: 0B0D0D12
	v_mul_f32_e32 v135, v14, v135                              // 000000003E04: 0B0F0F0E
	v_mul_f32_e32 v135, v18, v135                              // 000000003E08: 0B0F0F12
	v_mul_f32_dpp v132, v15, v132 row_newbcast:0 row_mask:0xf bank_mask:0xf// 000000003E0C: 0B0908FA FF01500F
	v_mul_f32_dpp v133, v15, v133 row_newbcast:1 row_mask:0xf bank_mask:0xf// 000000003E14: 0B0B0AFA FF01510F
	v_mul_f32_dpp v134, v15, v134 row_newbcast:2 row_mask:0xf bank_mask:0xf// 000000003E1C: 0B0D0CFA FF01520F
	v_mul_f32_dpp v135, v15, v135 row_newbcast:3 row_mask:0xf bank_mask:0xf// 000000003E24: 0B0F0EFA FF01530F
	v_mul_f32_e32 v136, v13, v136                              // 000000003E2C: 0B11110D
	v_mul_f32_e32 v136, v17, v136                              // 000000003E30: 0B111111
	v_mul_f32_e32 v137, v13, v137                              // 000000003E34: 0B13130D
	v_mul_f32_e32 v137, v17, v137                              // 000000003E38: 0B131311
	v_mul_f32_e32 v138, v13, v138                              // 000000003E3C: 0B15150D
	v_mul_f32_e32 v138, v17, v138                              // 000000003E40: 0B151511
	v_mul_f32_e32 v139, v13, v139                              // 000000003E44: 0B17170D
	v_mul_f32_e32 v139, v17, v139                              // 000000003E48: 0B171711
	v_mul_f32_dpp v136, v15, v136 row_newbcast:4 row_mask:0xf bank_mask:0xf// 000000003E4C: 0B1110FA FF01540F
	v_mul_f32_dpp v137, v15, v137 row_newbcast:5 row_mask:0xf bank_mask:0xf// 000000003E54: 0B1312FA FF01550F
	v_mul_f32_dpp v138, v15, v138 row_newbcast:6 row_mask:0xf bank_mask:0xf// 000000003E5C: 0B1514FA FF01560F
	v_mul_f32_dpp v139, v15, v139 row_newbcast:7 row_mask:0xf bank_mask:0xf// 000000003E64: 0B1716FA FF01570F
	v_mul_f32_e32 v140, v14, v140                              // 000000003E6C: 0B19190E
	v_mul_f32_e32 v140, v18, v140                              // 000000003E70: 0B191912
	v_mul_f32_e32 v141, v14, v141                              // 000000003E74: 0B1B1B0E
	v_mul_f32_e32 v141, v18, v141                              // 000000003E78: 0B1B1B12
	v_mul_f32_e32 v142, v14, v142                              // 000000003E7C: 0B1D1D0E
	v_mul_f32_e32 v142, v18, v142                              // 000000003E80: 0B1D1D12
	v_mul_f32_e32 v143, v14, v143                              // 000000003E84: 0B1F1F0E
	v_mul_f32_e32 v143, v18, v143                              // 000000003E88: 0B1F1F12
	v_mul_f32_dpp v140, v15, v140 row_newbcast:4 row_mask:0xf bank_mask:0xf// 000000003E8C: 0B1918FA FF01540F
	v_mul_f32_dpp v141, v15, v141 row_newbcast:5 row_mask:0xf bank_mask:0xf// 000000003E94: 0B1B1AFA FF01550F
	v_mul_f32_dpp v142, v15, v142 row_newbcast:6 row_mask:0xf bank_mask:0xf// 000000003E9C: 0B1D1CFA FF01560F
	v_mul_f32_dpp v143, v15, v143 row_newbcast:7 row_mask:0xf bank_mask:0xf// 000000003EA4: 0B1F1EFA FF01570F
	v_mul_f32_e32 v144, v13, v144                              // 000000003EAC: 0B21210D
	v_mul_f32_e32 v144, v17, v144                              // 000000003EB0: 0B212111
	v_mul_f32_e32 v145, v13, v145                              // 000000003EB4: 0B23230D
	v_mul_f32_e32 v145, v17, v145                              // 000000003EB8: 0B232311
	v_mul_f32_e32 v146, v13, v146                              // 000000003EBC: 0B25250D
	v_mul_f32_e32 v146, v17, v146                              // 000000003EC0: 0B252511
	v_mul_f32_e32 v147, v13, v147                              // 000000003EC4: 0B27270D
	v_mul_f32_e32 v147, v17, v147                              // 000000003EC8: 0B272711
	v_mul_f32_dpp v144, v15, v144 row_newbcast:8 row_mask:0xf bank_mask:0xf// 000000003ECC: 0B2120FA FF01580F
	v_mul_f32_dpp v145, v15, v145 row_newbcast:9 row_mask:0xf bank_mask:0xf// 000000003ED4: 0B2322FA FF01590F
	v_mul_f32_dpp v146, v15, v146 row_newbcast:10 row_mask:0xf bank_mask:0xf// 000000003EDC: 0B2524FA FF015A0F
	v_mul_f32_dpp v147, v15, v147 row_newbcast:11 row_mask:0xf bank_mask:0xf// 000000003EE4: 0B2726FA FF015B0F
	v_mul_f32_e32 v148, v14, v148                              // 000000003EEC: 0B29290E
	v_mul_f32_e32 v148, v18, v148                              // 000000003EF0: 0B292912
	v_mul_f32_e32 v149, v14, v149                              // 000000003EF4: 0B2B2B0E
	v_mul_f32_e32 v149, v18, v149                              // 000000003EF8: 0B2B2B12
	v_mul_f32_e32 v150, v14, v150                              // 000000003EFC: 0B2D2D0E
	v_mul_f32_e32 v150, v18, v150                              // 000000003F00: 0B2D2D12
	v_mul_f32_e32 v151, v14, v151                              // 000000003F04: 0B2F2F0E
	v_mul_f32_e32 v151, v18, v151                              // 000000003F08: 0B2F2F12
	v_mul_f32_dpp v148, v15, v148 row_newbcast:8 row_mask:0xf bank_mask:0xf// 000000003F0C: 0B2928FA FF01580F
	v_mul_f32_dpp v149, v15, v149 row_newbcast:9 row_mask:0xf bank_mask:0xf// 000000003F14: 0B2B2AFA FF01590F
	v_mul_f32_dpp v150, v15, v150 row_newbcast:10 row_mask:0xf bank_mask:0xf// 000000003F1C: 0B2D2CFA FF015A0F
	v_mul_f32_dpp v151, v15, v151 row_newbcast:11 row_mask:0xf bank_mask:0xf// 000000003F24: 0B2F2EFA FF015B0F
	v_mul_f32_e32 v64, v13, v64                                // 000000003F2C: 0A80810D
	v_mul_f32_e32 v64, v17, v64                                // 000000003F30: 0A808111
	v_mul_f32_e32 v65, v13, v65                                // 000000003F34: 0A82830D
	v_mul_f32_e32 v65, v17, v65                                // 000000003F38: 0A828311
	v_mul_f32_e32 v66, v13, v66                                // 000000003F3C: 0A84850D
	v_mul_f32_e32 v66, v17, v66                                // 000000003F40: 0A848511
	v_mul_f32_e32 v67, v13, v67                                // 000000003F44: 0A86870D
	v_mul_f32_e32 v67, v17, v67                                // 000000003F48: 0A868711
	v_mul_f32_dpp v64, v43, v64 row_newbcast:0 row_mask:0xf bank_mask:0xf// 000000003F4C: 0A8080FA FF01502B
	v_mul_f32_dpp v65, v43, v65 row_newbcast:1 row_mask:0xf bank_mask:0xf// 000000003F54: 0A8282FA FF01512B
	v_mul_f32_dpp v66, v43, v66 row_newbcast:2 row_mask:0xf bank_mask:0xf// 000000003F5C: 0A8484FA FF01522B
	v_mul_f32_dpp v67, v43, v67 row_newbcast:3 row_mask:0xf bank_mask:0xf// 000000003F64: 0A8686FA FF01532B
	v_mul_f32_e32 v68, v14, v68                                // 000000003F6C: 0A88890E
	v_mul_f32_e32 v68, v18, v68                                // 000000003F70: 0A888912
	v_mul_f32_e32 v69, v14, v69                                // 000000003F74: 0A8A8B0E
	v_mul_f32_e32 v69, v18, v69                                // 000000003F78: 0A8A8B12
	v_mul_f32_e32 v70, v14, v70                                // 000000003F7C: 0A8C8D0E
	v_mul_f32_e32 v70, v18, v70                                // 000000003F80: 0A8C8D12
	v_mul_f32_e32 v71, v14, v71                                // 000000003F84: 0A8E8F0E
	v_mul_f32_e32 v71, v18, v71                                // 000000003F88: 0A8E8F12
	v_mul_f32_dpp v68, v43, v68 row_newbcast:0 row_mask:0xf bank_mask:0xf// 000000003F8C: 0A8888FA FF01502B
	v_mul_f32_dpp v69, v43, v69 row_newbcast:1 row_mask:0xf bank_mask:0xf// 000000003F94: 0A8A8AFA FF01512B
	v_mul_f32_dpp v70, v43, v70 row_newbcast:2 row_mask:0xf bank_mask:0xf// 000000003F9C: 0A8C8CFA FF01522B
	v_mul_f32_dpp v71, v43, v71 row_newbcast:3 row_mask:0xf bank_mask:0xf// 000000003FA4: 0A8E8EFA FF01532B
	v_mul_f32_e32 v72, v13, v72                                // 000000003FAC: 0A90910D
	v_mul_f32_e32 v72, v17, v72                                // 000000003FB0: 0A909111
	v_mul_f32_e32 v73, v13, v73                                // 000000003FB4: 0A92930D
	v_mul_f32_e32 v73, v17, v73                                // 000000003FB8: 0A929311
	v_mul_f32_e32 v74, v13, v74                                // 000000003FBC: 0A94950D
	v_mul_f32_e32 v74, v17, v74                                // 000000003FC0: 0A949511
	v_mul_f32_e32 v75, v13, v75                                // 000000003FC4: 0A96970D
	v_mul_f32_e32 v75, v17, v75                                // 000000003FC8: 0A969711
	v_mul_f32_dpp v72, v43, v72 row_newbcast:4 row_mask:0xf bank_mask:0xf// 000000003FCC: 0A9090FA FF01542B
	v_mul_f32_dpp v73, v43, v73 row_newbcast:5 row_mask:0xf bank_mask:0xf// 000000003FD4: 0A9292FA FF01552B
	v_mul_f32_dpp v74, v43, v74 row_newbcast:6 row_mask:0xf bank_mask:0xf// 000000003FDC: 0A9494FA FF01562B
	v_mul_f32_dpp v75, v43, v75 row_newbcast:7 row_mask:0xf bank_mask:0xf// 000000003FE4: 0A9696FA FF01572B
	v_mul_f32_e32 v76, v14, v76                                // 000000003FEC: 0A98990E
	v_mul_f32_e32 v76, v18, v76                                // 000000003FF0: 0A989912
	v_mul_f32_e32 v77, v14, v77                                // 000000003FF4: 0A9A9B0E
	v_mul_f32_e32 v77, v18, v77                                // 000000003FF8: 0A9A9B12
	v_mul_f32_e32 v78, v14, v78                                // 000000003FFC: 0A9C9D0E
	v_mul_f32_e32 v78, v18, v78                                // 000000004000: 0A9C9D12
	v_mul_f32_e32 v79, v14, v79                                // 000000004004: 0A9E9F0E
	v_mul_f32_e32 v79, v18, v79                                // 000000004008: 0A9E9F12
	v_mul_f32_dpp v76, v43, v76 row_newbcast:4 row_mask:0xf bank_mask:0xf// 00000000400C: 0A9898FA FF01542B
	v_mul_f32_dpp v77, v43, v77 row_newbcast:5 row_mask:0xf bank_mask:0xf// 000000004014: 0A9A9AFA FF01552B
	v_mul_f32_dpp v78, v43, v78 row_newbcast:6 row_mask:0xf bank_mask:0xf// 00000000401C: 0A9C9CFA FF01562B
	v_mul_f32_dpp v79, v43, v79 row_newbcast:7 row_mask:0xf bank_mask:0xf// 000000004024: 0A9E9EFA FF01572B
	v_mul_f32_e32 v80, v13, v80                                // 00000000402C: 0AA0A10D
	v_mul_f32_e32 v80, v17, v80                                // 000000004030: 0AA0A111
	v_mul_f32_e32 v81, v13, v81                                // 000000004034: 0AA2A30D
	v_mul_f32_e32 v81, v17, v81                                // 000000004038: 0AA2A311
	v_mul_f32_e32 v82, v13, v82                                // 00000000403C: 0AA4A50D
	v_mul_f32_e32 v82, v17, v82                                // 000000004040: 0AA4A511
	v_mul_f32_e32 v83, v13, v83                                // 000000004044: 0AA6A70D
	v_mul_f32_e32 v83, v17, v83                                // 000000004048: 0AA6A711
	v_mul_f32_dpp v80, v43, v80 row_newbcast:8 row_mask:0xf bank_mask:0xf// 00000000404C: 0AA0A0FA FF01582B
	v_mul_f32_dpp v81, v43, v81 row_newbcast:9 row_mask:0xf bank_mask:0xf// 000000004054: 0AA2A2FA FF01592B
	v_mul_f32_dpp v82, v43, v82 row_newbcast:10 row_mask:0xf bank_mask:0xf// 00000000405C: 0AA4A4FA FF015A2B
	v_mul_f32_dpp v83, v43, v83 row_newbcast:11 row_mask:0xf bank_mask:0xf// 000000004064: 0AA6A6FA FF015B2B
	v_mul_f32_e32 v84, v14, v84                                // 00000000406C: 0AA8A90E
	v_mul_f32_e32 v84, v18, v84                                // 000000004070: 0AA8A912
	v_mul_f32_e32 v85, v14, v85                                // 000000004074: 0AAAAB0E
	v_mul_f32_e32 v85, v18, v85                                // 000000004078: 0AAAAB12
	v_mul_f32_e32 v86, v14, v86                                // 00000000407C: 0AACAD0E
	v_mul_f32_e32 v86, v18, v86                                // 000000004080: 0AACAD12
	v_mul_f32_e32 v87, v14, v87                                // 000000004084: 0AAEAF0E
	v_mul_f32_e32 v87, v18, v87                                // 000000004088: 0AAEAF12
	v_mul_f32_dpp v84, v43, v84 row_newbcast:8 row_mask:0xf bank_mask:0xf// 00000000408C: 0AA8A8FA FF01582B
	v_mul_f32_dpp v85, v43, v85 row_newbcast:9 row_mask:0xf bank_mask:0xf// 000000004094: 0AAAAAFA FF01592B
	v_mul_f32_dpp v86, v43, v86 row_newbcast:10 row_mask:0xf bank_mask:0xf// 00000000409C: 0AACACFA FF015A2B
	v_mul_f32_dpp v87, v43, v87 row_newbcast:11 row_mask:0xf bank_mask:0xf// 0000000040A4: 0AAEAEFA FF015B2B
	s_waitcnt vmcnt(8)                                         // 0000000040AC: BF8C0F78
	buffer_load_dwordx4 a[0:3], v35, s[12:15], 0 offen         // 0000000040B0: E05C1000 80830023
	v_mul_f32_e32 v44, v128, v128                              // 0000000040B8: 0A590180
	v_mul_f32_e32 v45, v129, v129                              // 0000000040BC: 0A5B0381
	v_mul_f32_e32 v46, v130, v130                              // 0000000040C0: 0A5D0582
	v_mul_f32_e32 v47, v131, v131                              // 0000000040C4: 0A5F0783
	v_fma_f32 v44, v44, s77, v1                                // 0000000040C8: D1CB002C 04049B2C
	v_fma_f32 v45, v45, s77, v1                                // 0000000040D0: D1CB002D 04049B2D
	v_fma_f32 v46, v46, s77, v1                                // 0000000040D8: D1CB002E 04049B2E
	v_fma_f32 v47, v47, s77, v1                                // 0000000040E0: D1CB002F 04049B2F
	v_mul_f32_e32 v44, v44, v128                               // 0000000040E8: 0A59012C
	v_mul_f32_e32 v45, v45, v129                               // 0000000040EC: 0A5B032D
	v_mul_f32_e32 v46, v46, v130                               // 0000000040F0: 0A5D052E
	v_mul_f32_e32 v47, v47, v131                               // 0000000040F4: 0A5F072F
	v_mul_f32_e64 v44, v44, s6                                 // 0000000040F8: D105002C 00000D2C
	v_mul_f32_e64 v45, v45, s6                                 // 000000004100: D105002D 00000D2D
	v_mul_f32_e64 v46, v46, s6                                 // 000000004108: D105002E 00000D2E
	v_mul_f32_e64 v47, v47, s6                                 // 000000004110: D105002F 00000D2F
	v_exp_f32_e32 v44, v44                                     // 000000004118: 7E58412C
	v_exp_f32_e32 v45, v45                                     // 00000000411C: 7E5A412D
	v_exp_f32_e32 v46, v46                                     // 000000004120: 7E5C412E
	v_exp_f32_e32 v47, v47                                     // 000000004124: 7E5E412F
	buffer_load_dwordx4 a[4:7], v36, s[12:15], 0 offen         // 000000004128: E05C1000 80830424
	v_add_f32_e64 v44, v44, 1.0                                // 000000004130: D101002C 0001E52C
	v_add_f32_e64 v45, v45, 1.0                                // 000000004138: D101002D 0001E52D
	v_add_f32_e64 v46, v46, 1.0                                // 000000004140: D101002E 0001E52E
	v_add_f32_e64 v47, v47, 1.0                                // 000000004148: D101002F 0001E52F
	v_rcp_f32_e32 v44, v44                                     // 000000004150: 7E58452C
	v_rcp_f32_e32 v45, v45                                     // 000000004154: 7E5A452D
	v_rcp_f32_e32 v46, v46                                     // 000000004158: 7E5C452E
	v_rcp_f32_e32 v47, v47                                     // 00000000415C: 7E5E452F
	v_mul_f32_e32 v128, v128, v44                              // 000000004160: 0B005980
	v_mul_f32_e32 v129, v129, v45                              // 000000004164: 0B025B81
	v_mul_f32_e32 v130, v130, v46                              // 000000004168: 0B045D82
	v_mul_f32_e32 v131, v131, v47                              // 00000000416C: 0B065F83
	v_mul_f32_e32 v128, v128, v64                              // 000000004170: 0B008180
	v_mul_f32_e32 v129, v129, v65                              // 000000004174: 0B028381
	v_mul_f32_e32 v130, v130, v66                              // 000000004178: 0B048582
	v_mul_f32_e32 v131, v131, v67                              // 00000000417C: 0B068783
	buffer_load_dwordx4 a[8:11], v37, s[12:15], 0 offen        // 000000004180: E05C1000 80830825
	v_mul_f32_e32 v44, v132, v132                              // 000000004188: 0A590984
	v_mul_f32_e32 v45, v133, v133                              // 00000000418C: 0A5B0B85
	v_mul_f32_e32 v46, v134, v134                              // 000000004190: 0A5D0D86
	v_mul_f32_e32 v47, v135, v135                              // 000000004194: 0A5F0F87
	v_fma_f32 v44, v44, s77, v1                                // 000000004198: D1CB002C 04049B2C
	v_fma_f32 v45, v45, s77, v1                                // 0000000041A0: D1CB002D 04049B2D
	v_fma_f32 v46, v46, s77, v1                                // 0000000041A8: D1CB002E 04049B2E
	v_fma_f32 v47, v47, s77, v1                                // 0000000041B0: D1CB002F 04049B2F
	v_mul_f32_e32 v44, v44, v132                               // 0000000041B8: 0A59092C
	v_mul_f32_e32 v45, v45, v133                               // 0000000041BC: 0A5B0B2D
	v_mul_f32_e32 v46, v46, v134                               // 0000000041C0: 0A5D0D2E
	v_mul_f32_e32 v47, v47, v135                               // 0000000041C4: 0A5F0F2F
	v_mul_f32_e64 v44, v44, s6                                 // 0000000041C8: D105002C 00000D2C
	v_mul_f32_e64 v45, v45, s6                                 // 0000000041D0: D105002D 00000D2D
	v_mul_f32_e64 v46, v46, s6                                 // 0000000041D8: D105002E 00000D2E
	v_mul_f32_e64 v47, v47, s6                                 // 0000000041E0: D105002F 00000D2F
	v_exp_f32_e32 v44, v44                                     // 0000000041E8: 7E58412C
	v_exp_f32_e32 v45, v45                                     // 0000000041EC: 7E5A412D
	v_exp_f32_e32 v46, v46                                     // 0000000041F0: 7E5C412E
	v_exp_f32_e32 v47, v47                                     // 0000000041F4: 7E5E412F
	buffer_load_dwordx4 a[12:15], v38, s[12:15], 0 offen       // 0000000041F8: E05C1000 80830C26
	s_add_u32 s12, s78, s12                                    // 000000004200: 800C0C4E
	s_addc_u32 s13, 0, s13                                     // 000000004204: 820D0D80
	v_add_f32_e64 v44, v44, 1.0                                // 000000004208: D101002C 0001E52C
	v_add_f32_e64 v45, v45, 1.0                                // 000000004210: D101002D 0001E52D
	v_add_f32_e64 v46, v46, 1.0                                // 000000004218: D101002E 0001E52E
	v_add_f32_e64 v47, v47, 1.0                                // 000000004220: D101002F 0001E52F
	v_rcp_f32_e32 v44, v44                                     // 000000004228: 7E58452C
	v_rcp_f32_e32 v45, v45                                     // 00000000422C: 7E5A452D
	v_rcp_f32_e32 v46, v46                                     // 000000004230: 7E5C452E
	v_rcp_f32_e32 v47, v47                                     // 000000004234: 7E5E452F
	v_mul_f32_e32 v132, v132, v44                              // 000000004238: 0B085984
	v_mul_f32_e32 v133, v133, v45                              // 00000000423C: 0B0A5B85
	v_mul_f32_e32 v134, v134, v46                              // 000000004240: 0B0C5D86
	v_mul_f32_e32 v135, v135, v47                              // 000000004244: 0B0E5F87
	v_mul_f32_e32 v132, v132, v68                              // 000000004248: 0B088984
	v_mul_f32_e32 v133, v133, v69                              // 00000000424C: 0B0A8B85
	v_mul_f32_e32 v134, v134, v70                              // 000000004250: 0B0C8D86
	v_mul_f32_e32 v135, v135, v71                              // 000000004254: 0B0E8F87
	s_waitcnt vmcnt(8)                                         // 000000004258: BF8C0F78
	buffer_load_dwordx4 a[16:19], v35, s[12:15], 0 offen       // 00000000425C: E05C1000 80831023
	v_mul_f32_e32 v44, v136, v136                              // 000000004264: 0A591188
	v_mul_f32_e32 v45, v137, v137                              // 000000004268: 0A5B1389
	v_mul_f32_e32 v46, v138, v138                              // 00000000426C: 0A5D158A
	v_mul_f32_e32 v47, v139, v139                              // 000000004270: 0A5F178B
	v_fma_f32 v44, v44, s77, v1                                // 000000004274: D1CB002C 04049B2C
	v_fma_f32 v45, v45, s77, v1                                // 00000000427C: D1CB002D 04049B2D
	v_fma_f32 v46, v46, s77, v1                                // 000000004284: D1CB002E 04049B2E
	v_fma_f32 v47, v47, s77, v1                                // 00000000428C: D1CB002F 04049B2F
	v_mul_f32_e32 v44, v44, v136                               // 000000004294: 0A59112C
	v_mul_f32_e32 v45, v45, v137                               // 000000004298: 0A5B132D
	v_mul_f32_e32 v46, v46, v138                               // 00000000429C: 0A5D152E
	v_mul_f32_e32 v47, v47, v139                               // 0000000042A0: 0A5F172F
	v_mul_f32_e64 v44, v44, s6                                 // 0000000042A4: D105002C 00000D2C
	v_mul_f32_e64 v45, v45, s6                                 // 0000000042AC: D105002D 00000D2D
	v_mul_f32_e64 v46, v46, s6                                 // 0000000042B4: D105002E 00000D2E
	v_mul_f32_e64 v47, v47, s6                                 // 0000000042BC: D105002F 00000D2F
	v_exp_f32_e32 v44, v44                                     // 0000000042C4: 7E58412C
	v_exp_f32_e32 v45, v45                                     // 0000000042C8: 7E5A412D
	v_exp_f32_e32 v46, v46                                     // 0000000042CC: 7E5C412E
	v_exp_f32_e32 v47, v47                                     // 0000000042D0: 7E5E412F
	buffer_load_dwordx4 a[20:23], v36, s[12:15], 0 offen       // 0000000042D4: E05C1000 80831424
	v_add_f32_e64 v44, v44, 1.0                                // 0000000042DC: D101002C 0001E52C
	v_add_f32_e64 v45, v45, 1.0                                // 0000000042E4: D101002D 0001E52D
	v_add_f32_e64 v46, v46, 1.0                                // 0000000042EC: D101002E 0001E52E
	v_add_f32_e64 v47, v47, 1.0                                // 0000000042F4: D101002F 0001E52F
	v_rcp_f32_e32 v44, v44                                     // 0000000042FC: 7E58452C
	v_rcp_f32_e32 v45, v45                                     // 000000004300: 7E5A452D
	v_rcp_f32_e32 v46, v46                                     // 000000004304: 7E5C452E
	v_rcp_f32_e32 v47, v47                                     // 000000004308: 7E5E452F
	v_mul_f32_e32 v136, v136, v44                              // 00000000430C: 0B105988
	v_mul_f32_e32 v137, v137, v45                              // 000000004310: 0B125B89
	v_mul_f32_e32 v138, v138, v46                              // 000000004314: 0B145D8A
	v_mul_f32_e32 v139, v139, v47                              // 000000004318: 0B165F8B
	v_mul_f32_e32 v136, v136, v72                              // 00000000431C: 0B109188
	v_mul_f32_e32 v137, v137, v73                              // 000000004320: 0B129389
	v_mul_f32_e32 v138, v138, v74                              // 000000004324: 0B14958A
	v_mul_f32_e32 v139, v139, v75                              // 000000004328: 0B16978B
	buffer_load_dwordx4 a[24:27], v37, s[12:15], 0 offen       // 00000000432C: E05C1000 80831825
	v_mul_f32_e32 v44, v140, v140                              // 000000004334: 0A59198C
	v_mul_f32_e32 v45, v141, v141                              // 000000004338: 0A5B1B8D
	v_mul_f32_e32 v46, v142, v142                              // 00000000433C: 0A5D1D8E
	v_mul_f32_e32 v47, v143, v143                              // 000000004340: 0A5F1F8F
	v_fma_f32 v44, v44, s77, v1                                // 000000004344: D1CB002C 04049B2C
	v_fma_f32 v45, v45, s77, v1                                // 00000000434C: D1CB002D 04049B2D
	v_fma_f32 v46, v46, s77, v1                                // 000000004354: D1CB002E 04049B2E
	v_fma_f32 v47, v47, s77, v1                                // 00000000435C: D1CB002F 04049B2F
	v_mul_f32_e32 v44, v44, v140                               // 000000004364: 0A59192C
	v_mul_f32_e32 v45, v45, v141                               // 000000004368: 0A5B1B2D
	v_mul_f32_e32 v46, v46, v142                               // 00000000436C: 0A5D1D2E
	v_mul_f32_e32 v47, v47, v143                               // 000000004370: 0A5F1F2F
	v_mul_f32_e64 v44, v44, s6                                 // 000000004374: D105002C 00000D2C
	v_mul_f32_e64 v45, v45, s6                                 // 00000000437C: D105002D 00000D2D
	v_mul_f32_e64 v46, v46, s6                                 // 000000004384: D105002E 00000D2E
	v_mul_f32_e64 v47, v47, s6                                 // 00000000438C: D105002F 00000D2F
	v_exp_f32_e32 v44, v44                                     // 000000004394: 7E58412C
	v_exp_f32_e32 v45, v45                                     // 000000004398: 7E5A412D
	v_exp_f32_e32 v46, v46                                     // 00000000439C: 7E5C412E
	v_exp_f32_e32 v47, v47                                     // 0000000043A0: 7E5E412F
	buffer_load_dwordx4 a[28:31], v38, s[12:15], 0 offen       // 0000000043A4: E05C1000 80831C26
	s_add_u32 s12, s78, s12                                    // 0000000043AC: 800C0C4E
	s_addc_u32 s13, 0, s13                                     // 0000000043B0: 820D0D80
	v_add_f32_e64 v44, v44, 1.0                                // 0000000043B4: D101002C 0001E52C
	v_add_f32_e64 v45, v45, 1.0                                // 0000000043BC: D101002D 0001E52D
	v_add_f32_e64 v46, v46, 1.0                                // 0000000043C4: D101002E 0001E52E
	v_add_f32_e64 v47, v47, 1.0                                // 0000000043CC: D101002F 0001E52F
	v_rcp_f32_e32 v44, v44                                     // 0000000043D4: 7E58452C
	v_rcp_f32_e32 v45, v45                                     // 0000000043D8: 7E5A452D
	v_rcp_f32_e32 v46, v46                                     // 0000000043DC: 7E5C452E
	v_rcp_f32_e32 v47, v47                                     // 0000000043E0: 7E5E452F
	v_mul_f32_e32 v140, v140, v44                              // 0000000043E4: 0B18598C
	v_mul_f32_e32 v141, v141, v45                              // 0000000043E8: 0B1A5B8D
	v_mul_f32_e32 v142, v142, v46                              // 0000000043EC: 0B1C5D8E
	v_mul_f32_e32 v143, v143, v47                              // 0000000043F0: 0B1E5F8F
	v_mul_f32_e32 v140, v140, v76                              // 0000000043F4: 0B18998C
	v_mul_f32_e32 v141, v141, v77                              // 0000000043F8: 0B1A9B8D
	v_mul_f32_e32 v142, v142, v78                              // 0000000043FC: 0B1C9D8E
	v_mul_f32_e32 v143, v143, v79                              // 000000004400: 0B1E9F8F
	s_waitcnt vmcnt(8)                                         // 000000004404: BF8C0F78
	buffer_load_dwordx4 a[32:35], v35, s[12:15], 0 offen       // 000000004408: E05C1000 80832023
	v_mul_f32_e32 v44, v144, v144                              // 000000004410: 0A592190
	v_mul_f32_e32 v45, v145, v145                              // 000000004414: 0A5B2391
	v_mul_f32_e32 v46, v146, v146                              // 000000004418: 0A5D2592
	v_mul_f32_e32 v47, v147, v147                              // 00000000441C: 0A5F2793
	v_fma_f32 v44, v44, s77, v1                                // 000000004420: D1CB002C 04049B2C
	v_fma_f32 v45, v45, s77, v1                                // 000000004428: D1CB002D 04049B2D
	v_fma_f32 v46, v46, s77, v1                                // 000000004430: D1CB002E 04049B2E
	v_fma_f32 v47, v47, s77, v1                                // 000000004438: D1CB002F 04049B2F
	v_mul_f32_e32 v44, v44, v144                               // 000000004440: 0A59212C
	v_mul_f32_e32 v45, v45, v145                               // 000000004444: 0A5B232D
	v_mul_f32_e32 v46, v46, v146                               // 000000004448: 0A5D252E
	v_mul_f32_e32 v47, v47, v147                               // 00000000444C: 0A5F272F
	v_mul_f32_e64 v44, v44, s6                                 // 000000004450: D105002C 00000D2C
	v_mul_f32_e64 v45, v45, s6                                 // 000000004458: D105002D 00000D2D
	v_mul_f32_e64 v46, v46, s6                                 // 000000004460: D105002E 00000D2E
	v_mul_f32_e64 v47, v47, s6                                 // 000000004468: D105002F 00000D2F
	v_exp_f32_e32 v44, v44                                     // 000000004470: 7E58412C
	v_exp_f32_e32 v45, v45                                     // 000000004474: 7E5A412D
	v_exp_f32_e32 v46, v46                                     // 000000004478: 7E5C412E
	v_exp_f32_e32 v47, v47                                     // 00000000447C: 7E5E412F
	buffer_load_dwordx4 a[36:39], v36, s[12:15], 0 offen       // 000000004480: E05C1000 80832424
	v_add_f32_e64 v44, v44, 1.0                                // 000000004488: D101002C 0001E52C
	v_add_f32_e64 v45, v45, 1.0                                // 000000004490: D101002D 0001E52D
	v_add_f32_e64 v46, v46, 1.0                                // 000000004498: D101002E 0001E52E
	v_add_f32_e64 v47, v47, 1.0                                // 0000000044A0: D101002F 0001E52F
	v_rcp_f32_e32 v44, v44                                     // 0000000044A8: 7E58452C
	v_rcp_f32_e32 v45, v45                                     // 0000000044AC: 7E5A452D
	v_rcp_f32_e32 v46, v46                                     // 0000000044B0: 7E5C452E
	v_rcp_f32_e32 v47, v47                                     // 0000000044B4: 7E5E452F
	v_mul_f32_e32 v144, v144, v44                              // 0000000044B8: 0B205990
	v_mul_f32_e32 v145, v145, v45                              // 0000000044BC: 0B225B91
	v_mul_f32_e32 v146, v146, v46                              // 0000000044C0: 0B245D92
	v_mul_f32_e32 v147, v147, v47                              // 0000000044C4: 0B265F93
	v_mul_f32_e32 v144, v144, v80                              // 0000000044C8: 0B20A190
	v_mul_f32_e32 v145, v145, v81                              // 0000000044CC: 0B22A391
	v_mul_f32_e32 v146, v146, v82                              // 0000000044D0: 0B24A592
	v_mul_f32_e32 v147, v147, v83                              // 0000000044D4: 0B26A793
	buffer_load_dwordx4 a[40:43], v37, s[12:15], 0 offen       // 0000000044D8: E05C1000 80832825
	v_mul_f32_e32 v44, v148, v148                              // 0000000044E0: 0A592994
	v_mul_f32_e32 v45, v149, v149                              // 0000000044E4: 0A5B2B95
	v_mul_f32_e32 v46, v150, v150                              // 0000000044E8: 0A5D2D96
	v_mul_f32_e32 v47, v151, v151                              // 0000000044EC: 0A5F2F97
	v_fma_f32 v44, v44, s77, v1                                // 0000000044F0: D1CB002C 04049B2C
	v_fma_f32 v45, v45, s77, v1                                // 0000000044F8: D1CB002D 04049B2D
	v_fma_f32 v46, v46, s77, v1                                // 000000004500: D1CB002E 04049B2E
	v_fma_f32 v47, v47, s77, v1                                // 000000004508: D1CB002F 04049B2F
	v_mul_f32_e32 v44, v44, v148                               // 000000004510: 0A59292C
	v_mul_f32_e32 v45, v45, v149                               // 000000004514: 0A5B2B2D
	v_mul_f32_e32 v46, v46, v150                               // 000000004518: 0A5D2D2E
	v_mul_f32_e32 v47, v47, v151                               // 00000000451C: 0A5F2F2F
	v_mul_f32_e64 v44, v44, s6                                 // 000000004520: D105002C 00000D2C
	v_mul_f32_e64 v45, v45, s6                                 // 000000004528: D105002D 00000D2D
	v_mul_f32_e64 v46, v46, s6                                 // 000000004530: D105002E 00000D2E
	v_mul_f32_e64 v47, v47, s6                                 // 000000004538: D105002F 00000D2F
	v_exp_f32_e32 v44, v44                                     // 000000004540: 7E58412C
	v_exp_f32_e32 v45, v45                                     // 000000004544: 7E5A412D
	v_exp_f32_e32 v46, v46                                     // 000000004548: 7E5C412E
	v_exp_f32_e32 v47, v47                                     // 00000000454C: 7E5E412F
	buffer_load_dwordx4 a[44:47], v38, s[12:15], 0 offen       // 000000004550: E05C1000 80832C26
	v_add_f32_e64 v44, v44, 1.0                                // 000000004558: D101002C 0001E52C
	v_add_f32_e64 v45, v45, 1.0                                // 000000004560: D101002D 0001E52D
	v_add_f32_e64 v46, v46, 1.0                                // 000000004568: D101002E 0001E52E
	v_add_f32_e64 v47, v47, 1.0                                // 000000004570: D101002F 0001E52F
	v_rcp_f32_e32 v44, v44                                     // 000000004578: 7E58452C
	v_rcp_f32_e32 v45, v45                                     // 00000000457C: 7E5A452D
	v_rcp_f32_e32 v46, v46                                     // 000000004580: 7E5C452E
	v_rcp_f32_e32 v47, v47                                     // 000000004584: 7E5E452F
	v_mul_f32_e32 v148, v148, v44                              // 000000004588: 0B285994
	v_mul_f32_e32 v149, v149, v45                              // 00000000458C: 0B2A5B95
	v_mul_f32_e32 v150, v150, v46                              // 000000004590: 0B2C5D96
	v_mul_f32_e32 v151, v151, v47                              // 000000004594: 0B2E5F97
	v_mul_f32_e32 v148, v148, v84                              // 000000004598: 0B28A994
	v_mul_f32_e32 v149, v149, v85                              // 00000000459C: 0B2AAB95
	v_mul_f32_e32 v150, v150, v86                              // 0000000045A0: 0B2CAD96
	v_mul_f32_e32 v151, v151, v87                              // 0000000045A4: 0B2EAF97
	v_lshlrev_b32_e32 v44, 2, v0                               // 0000000045A8: 24580082
	s_mul_i32 s60, s82, s71                                    // 0000000045AC: 923C4752
	v_add_u32_e64 v80, v44, s60                                // 0000000045B0: D1340050 0000792C
	v_mov_b32_e32 v81, 0                                       // 0000000045B8: 7EA20280
	s_mul_i32 s60, s83, s71                                    // 0000000045BC: 923C4753
	v_add_u32_e64 v82, v44, s60                                // 0000000045C0: D1340052 0000792C
	v_mov_b32_e32 v83, 0                                       // 0000000045C8: 7EA60280
	s_mul_i32 s60, s84, s71                                    // 0000000045CC: 923C4754
	v_add_u32_e64 v84, v44, s60                                // 0000000045D0: D1340054 0000792C
	v_mov_b32_e32 v85, 0                                       // 0000000045D8: 7EAA0280
	s_mul_i32 s60, s85, s71                                    // 0000000045DC: 923C4755
	v_add_u32_e64 v86, v44, s60                                // 0000000045E0: D1340056 0000792C
	v_mov_b32_e32 v87, 0                                       // 0000000045E8: 7EAE0280
	s_mul_i32 s60, s86, s71                                    // 0000000045EC: 923C4756
	v_add_u32_e64 v88, v44, s60                                // 0000000045F0: D1340058 0000792C
	v_mov_b32_e32 v89, 0                                       // 0000000045F8: 7EB20280
	s_mul_i32 s60, s87, s71                                    // 0000000045FC: 923C4757
	v_add_u32_e64 v90, v44, s60                                // 000000004600: D134005A 0000792C
	v_mov_b32_e32 v91, 0                                       // 000000004608: 7EB60280
	s_mul_i32 s60, s88, s71                                    // 00000000460C: 923C4758
	v_add_u32_e64 v92, v44, s60                                // 000000004610: D134005C 0000792C
	v_mov_b32_e32 v93, 0                                       // 000000004618: 7EBA0280
	s_mul_i32 s60, s89, s71                                    // 00000000461C: 923C4759
	v_add_u32_e64 v94, v44, s60                                // 000000004620: D134005E 0000792C
	v_mov_b32_e32 v95, 0                                       // 000000004628: 7EBE0280
	buffer_load_dword v11, v5, s[16:19], 0 offen               // 00000000462C: E0501000 80040B05
	v_mov_b32_e32 v20, 0x358637bd                              // 000000004634: 7E2802FF 358637BD
	v_mov_b32_e32 v21, 0x358637bd                              // 00000000463C: 7E2A02FF 358637BD
	v_max3_f32 v20, |v128|, |v129|, v20                        // 000000004644: D1D30314 04530380
	v_max3_f32 v20, |v130|, |v131|, v20                        // 00000000464C: D1D30314 04530782
	v_max3_f32 v21, |v132|, |v133|, v21                        // 000000004654: D1D30315 04570B84
	v_max3_f32 v21, |v134|, |v135|, v21                        // 00000000465C: D1D30315 04570F86
	v_max3_f32 v20, |v136|, |v137|, v20                        // 000000004664: D1D30314 04531388
	v_max3_f32 v20, |v138|, |v139|, v20                        // 00000000466C: D1D30314 0453178A
	v_max3_f32 v21, |v140|, |v141|, v21                        // 000000004674: D1D30315 04571B8C
	v_max3_f32 v21, |v142|, |v143|, v21                        // 00000000467C: D1D30315 04571F8E
	v_max3_f32 v20, |v144|, |v145|, v20                        // 000000004684: D1D30314 04532390
	v_max3_f32 v20, |v146|, |v147|, v20                        // 00000000468C: D1D30314 04532792
	v_max3_f32 v21, |v148|, |v149|, v21                        // 000000004694: D1D30315 04572B94
	v_max3_f32 v21, |v150|, |v151|, v21                        // 00000000469C: D1D30315 04572F96
	v_lshlrev_b32_e32 v44, 3, v0                               // 0000000046A4: 24580083
	s_mul_i32 s60, 0x200, s7                                   // 0000000046A8: 923C07FF 00000200
	v_add_u32_e32 v44, s60, v44                                // 0000000046B0: 6858583C
	ds_write_b64 v44, v[20:21] offset:16640                    // 0000000046B4: D89A4100 0000142C
	s_waitcnt lgkmcnt(0)                                       // 0000000046BC: BF8CC07F
	s_barrier                                                  // 0000000046C0: BF8A0000
	v_and_b32_e32 v44, 15, v0                                  // 0000000046C4: 2658008F
	v_lshlrev_b32_e32 v44, 3, v44                              // 0000000046C8: 24585883
	ds_read_b64 v[96:97], v44 offset:16640                     // 0000000046CC: D8EC4100 6000002C
	ds_read_b64 v[98:99], v44 offset:16768                     // 0000000046D4: D8EC4180 6200002C
	ds_read_b64 v[100:101], v44 offset:16896                   // 0000000046DC: D8EC4200 6400002C
	ds_read_b64 v[102:103], v44 offset:17024                   // 0000000046E4: D8EC4280 6600002C
	ds_read_b64 v[104:105], v44 offset:17152                   // 0000000046EC: D8EC4300 6800002C
	ds_read_b64 v[106:107], v44 offset:17280                   // 0000000046F4: D8EC4380 6A00002C
	ds_read_b64 v[108:109], v44 offset:17408                   // 0000000046FC: D8EC4400 6C00002C
	ds_read_b64 v[110:111], v44 offset:17536                   // 000000004704: D8EC4480 6E00002C
	ds_read_b64 v[112:113], v44 offset:17664                   // 00000000470C: D8EC4500 7000002C
	ds_read_b64 v[114:115], v44 offset:17792                   // 000000004714: D8EC4580 7200002C
	ds_read_b64 v[116:117], v44 offset:17920                   // 00000000471C: D8EC4600 7400002C
	ds_read_b64 v[118:119], v44 offset:18048                   // 000000004724: D8EC4680 7600002C
	ds_read_b64 v[120:121], v44 offset:18176                   // 00000000472C: D8EC4700 7800002C
	ds_read_b64 v[122:123], v44 offset:18304                   // 000000004734: D8EC4780 7A00002C
	ds_read_b64 v[124:125], v44 offset:18432                   // 00000000473C: D8EC4800 7C00002C
	ds_read_b64 v[126:127], v44 offset:18560                   // 000000004744: D8EC4880 7E00002C
	s_waitcnt lgkmcnt(0)                                       // 00000000474C: BF8CC07F
	v_max3_f32 v20, |v96|, |v98|, v20                          // 000000004750: D1D30314 0452C560
	v_max3_f32 v21, |v97|, |v99|, v21                          // 000000004758: D1D30315 0456C761
	v_max3_f32 v20, |v100|, |v102|, v20                        // 000000004760: D1D30314 0452CD64
	v_max3_f32 v21, |v101|, |v103|, v21                        // 000000004768: D1D30315 0456CF65
	v_max3_f32 v20, |v104|, |v106|, v20                        // 000000004770: D1D30314 0452D568
	v_max3_f32 v21, |v105|, |v107|, v21                        // 000000004778: D1D30315 0456D769
	v_max3_f32 v20, |v108|, |v110|, v20                        // 000000004780: D1D30314 0452DD6C
	v_max3_f32 v21, |v109|, |v111|, v21                        // 000000004788: D1D30315 0456DF6D
	v_max3_f32 v20, |v112|, |v114|, v20                        // 000000004790: D1D30314 0452E570
	v_max3_f32 v21, |v113|, |v115|, v21                        // 000000004798: D1D30315 0456E771
	v_max3_f32 v20, |v116|, |v118|, v20                        // 0000000047A0: D1D30314 0452ED74
	v_max3_f32 v21, |v117|, |v119|, v21                        // 0000000047A8: D1D30315 0456EF75
	v_max3_f32 v20, |v120|, |v122|, v20                        // 0000000047B0: D1D30314 0452F578
	v_max3_f32 v21, |v121|, |v123|, v21                        // 0000000047B8: D1D30315 0456F779
	v_max3_f32 v20, |v124|, |v126|, v20                        // 0000000047C0: D1D30314 0452FD7C
	v_max3_f32 v21, |v125|, |v127|, v21                        // 0000000047C8: D1D30315 0456FF7D
	v_rcp_f32_e32 v20, v20                                     // 0000000047D0: 7E284514
	v_rcp_f32_e32 v21, v21                                     // 0000000047D4: 7E2A4515
	v_mov_b32_e32 v44, 0x43700000                              // 0000000047D8: 7E5802FF 43700000
	v_mul_f32_e32 v20, v44, v20                                // 0000000047E0: 0A28292C
	v_mul_f32_e32 v21, v44, v21                                // 0000000047E4: 0A2A2B2C
	v_mul_f32_e32 v128, v20, v128                              // 0000000047E8: 0B010114
	v_mul_f32_e32 v129, v20, v129                              // 0000000047EC: 0B030314
	v_mul_f32_e32 v130, v20, v130                              // 0000000047F0: 0B050514
	v_mul_f32_e32 v131, v20, v131                              // 0000000047F4: 0B070714
	v_cvt_pk_fp8_f32 v128, v128, v129                          // 0000000047F8: D2A20080 00030380
	v_cvt_pk_fp8_f32 v128, v130, v131 op_sel:[0,0,1]           // 000000004800: D2A24080 00030782
	v_mul_f32_e32 v132, v21, v132                              // 000000004808: 0B090915
	v_mul_f32_e32 v133, v21, v133                              // 00000000480C: 0B0B0B15
	v_mul_f32_e32 v134, v21, v134                              // 000000004810: 0B0D0D15
	v_mul_f32_e32 v135, v21, v135                              // 000000004814: 0B0F0F15
	v_cvt_pk_fp8_f32 v129, v132, v133                          // 000000004818: D2A20081 00030B84
	v_cvt_pk_fp8_f32 v129, v134, v135 op_sel:[0,0,1]           // 000000004820: D2A24081 00030F86
	v_mul_f32_e32 v136, v20, v136                              // 000000004828: 0B111114
	v_mul_f32_e32 v137, v20, v137                              // 00000000482C: 0B131314
	v_mul_f32_e32 v138, v20, v138                              // 000000004830: 0B151514
	v_mul_f32_e32 v139, v20, v139                              // 000000004834: 0B171714
	v_cvt_pk_fp8_f32 v130, v136, v137                          // 000000004838: D2A20082 00031388
	v_cvt_pk_fp8_f32 v130, v138, v139 op_sel:[0,0,1]           // 000000004840: D2A24082 0003178A
	v_mul_f32_e32 v140, v21, v140                              // 000000004848: 0B191915
	v_mul_f32_e32 v141, v21, v141                              // 00000000484C: 0B1B1B15
	v_mul_f32_e32 v142, v21, v142                              // 000000004850: 0B1D1D15
	v_mul_f32_e32 v143, v21, v143                              // 000000004854: 0B1F1F15
	v_cvt_pk_fp8_f32 v131, v140, v141                          // 000000004858: D2A20083 00031B8C
	v_cvt_pk_fp8_f32 v131, v142, v143 op_sel:[0,0,1]           // 000000004860: D2A24083 00031F8E
	v_mul_f32_e32 v144, v20, v144                              // 000000004868: 0B212114
	v_mul_f32_e32 v145, v20, v145                              // 00000000486C: 0B232314
	v_mul_f32_e32 v146, v20, v146                              // 000000004870: 0B252514
	v_mul_f32_e32 v147, v20, v147                              // 000000004874: 0B272714
	v_cvt_pk_fp8_f32 v132, v144, v145                          // 000000004878: D2A20084 00032390
	v_cvt_pk_fp8_f32 v132, v146, v147 op_sel:[0,0,1]           // 000000004880: D2A24084 00032792
	v_mul_f32_e32 v148, v21, v148                              // 000000004888: 0B292915
	v_mul_f32_e32 v149, v21, v149                              // 00000000488C: 0B2B2B15
	v_mul_f32_e32 v150, v21, v150                              // 000000004890: 0B2D2D15
	v_mul_f32_e32 v151, v21, v151                              // 000000004894: 0B2F2F15
	v_cvt_pk_fp8_f32 v133, v148, v149                          // 000000004898: D2A20085 00032B94
	v_cvt_pk_fp8_f32 v133, v150, v151 op_sel:[0,0,1]           // 0000000048A0: D2A24085 00032F96
	v_rcp_f32_e32 v22, v20                                     // 0000000048A8: 7E2C4514
	v_rcp_f32_e32 v23, v21                                     // 0000000048AC: 7E2E4515
	v_lshrrev_b32_e32 v44, 5, v0                               // 0000000048B0: 20580085
	v_lshlrev_b32_e32 v45, 5, v44                              // 0000000048B4: 245A5885
	v_and_b32_e32 v44, 31, v0                                  // 0000000048B8: 2658009F
	v_lshrrev_b32_e32 v46, 4, v44                              // 0000000048BC: 205C5884
	v_add_u32_e32 v45, v46, v45                                // 0000000048C0: 685A5B2E
	v_and_b32_e32 v44, 15, v0                                  // 0000000048C4: 2658008F
	v_lshlrev_b32_e32 v44, 1, v44                              // 0000000048C8: 24585881
	v_add_u32_e32 v45, v44, v45                                // 0000000048CC: 685A5B2C
	v_lshlrev_b32_e32 v44, 2, v45                              // 0000000048D0: 24585A82
	s_mul_i32 s60, 0x100, s7                                   // 0000000048D4: 923C07FF 00000100
	v_add_u32_e64 v44, v44, s60                                // 0000000048DC: D134002C 0000792C
	ds_write_b32 v44, v128 offset:18688                        // 0000000048E4: D81A4900 0000802C
	ds_write_b32 v44, v129 offset:21760                        // 0000000048EC: D81A5500 0000812C
	ds_write_b32 v44, v130 offset:19712                        // 0000000048F4: D81A4D00 0000822C
	ds_write_b32 v44, v131 offset:22784                        // 0000000048FC: D81A5900 0000832C
	ds_write_b32 v44, v132 offset:20736                        // 000000004904: D81A5100 0000842C
	ds_write_b32 v44, v133 offset:23808                        // 00000000490C: D81A5D00 0000852C
	s_waitcnt lgkmcnt(0)                                       // 000000004914: BF8CC07F
	s_barrier                                                  // 000000004918: BF8A0000
	v_lshrrev_b32_e32 v44, 4, v0                               // 00000000491C: 20580084
	v_lshlrev_b32_e32 v45, 6, v44                              // 000000004920: 245A5886
	v_and_b32_e32 v44, 15, v0                                  // 000000004924: 2658008F
	v_lshlrev_b32_e32 v44, 1, v44                              // 000000004928: 24585881
	v_add_u32_e32 v45, v44, v45                                // 00000000492C: 685A5B2C
	v_lshlrev_b32_e32 v44, 2, v45                              // 000000004930: 24585A82
	ds_read_b64 v[128:129], v44 offset:18688                   // 000000004934: D8EC4900 8000002C
	ds_read_b64 v[130:131], v44 offset:18816                   // 00000000493C: D8EC4980 8200002C
	ds_read_b64 v[132:133], v44 offset:19712                   // 000000004944: D8EC4D00 8400002C
	ds_read_b64 v[134:135], v44 offset:19840                   // 00000000494C: D8EC4D80 8600002C
	ds_read_b64 v[136:137], v44 offset:20736                   // 000000004954: D8EC5100 8800002C
	ds_read_b64 v[138:139], v44 offset:20864                   // 00000000495C: D8EC5180 8A00002C
	ds_read_b64 v[140:141], v44 offset:21760                   // 000000004964: D8EC5500 8C00002C
	ds_read_b64 v[142:143], v44 offset:21888                   // 00000000496C: D8EC5580 8E00002C
	ds_read_b64 v[144:145], v44 offset:22784                   // 000000004974: D8EC5900 9000002C
	ds_read_b64 v[146:147], v44 offset:22912                   // 00000000497C: D8EC5980 9200002C
	ds_read_b64 v[148:149], v44 offset:23808                   // 000000004984: D8EC5D00 9400002C
	ds_read_b64 v[150:151], v44 offset:23936                   // 00000000498C: D8EC5D80 9600002C
	s_add_u32 s12, s56, s12                                    // 000000004994: 800C0C38
	s_addc_u32 s13, 0, s13                                     // 000000004998: 820D0D80
	s_add_u32 s16, s79, s16                                    // 00000000499C: 8010104F
	s_addc_u32 s17, 0, s17                                     // 0000000049A0: 82111180
	s_mov_b32 s80, 0                                           // 0000000049A4: BED00080
	s_waitcnt vmcnt(0) expcnt(0) lgkmcnt(0)                    // 0000000049A8: BF8C0000

00000000000049ac <label_07AB>:
	s_waitcnt vmcnt(25)                                        // 0000000049AC: BF8C4F79
	s_barrier                                                  // 0000000049B0: BF8A0000
	v_mfma_f32_16x16x32_fp8_fp8 v[152:155], a[0:1], v[128:129], 0// 0000000049B4: D3F30098 0A030100
	v_mfma_f32_16x16x32_fp8_fp8 v[152:155], a[2:3], v[130:131], v[152:155]// 0000000049BC: D3F30098 0E630502
	buffer_load_dwordx4 a[48:51], v35, s[12:15], 0 offen       // 0000000049C4: E05C1000 80833023
	v_mfma_f32_16x16x32_fp8_fp8 v[156:159], a[0:1], v[140:141], 0// 0000000049CC: D3F3009C 0A031900
	v_mfma_f32_16x16x32_fp8_fp8 v[156:159], a[2:3], v[142:143], v[156:159]// 0000000049D4: D3F3009C 0E731D02
	v_mfma_f32_16x16x32_fp8_fp8 v[160:163], a[4:5], v[128:129], 0// 0000000049DC: D3F300A0 0A030104
	v_mfma_f32_16x16x32_fp8_fp8 v[160:163], a[6:7], v[130:131], v[160:163]// 0000000049E4: D3F300A0 0E830506
	buffer_load_dwordx4 a[52:55], v36, s[12:15], 0 offen       // 0000000049EC: E05C1000 80833424
	v_mfma_f32_16x16x32_fp8_fp8 v[164:167], a[4:5], v[140:141], 0// 0000000049F4: D3F300A4 0A031904
	v_mfma_f32_16x16x32_fp8_fp8 v[164:167], a[6:7], v[142:143], v[164:167]// 0000000049FC: D3F300A4 0E931D06
	v_mfma_f32_16x16x32_fp8_fp8 v[168:171], a[8:9], v[128:129], 0// 000000004A04: D3F300A8 0A030108
	v_mfma_f32_16x16x32_fp8_fp8 v[168:171], a[10:11], v[130:131], v[168:171]// 000000004A0C: D3F300A8 0EA3050A
	buffer_load_dwordx4 a[56:59], v37, s[12:15], 0 offen       // 000000004A14: E05C1000 80833825
	v_mfma_f32_16x16x32_fp8_fp8 v[172:175], a[8:9], v[140:141], 0// 000000004A1C: D3F300AC 0A031908
	v_mfma_f32_16x16x32_fp8_fp8 v[172:175], a[10:11], v[142:143], v[172:175]// 000000004A24: D3F300AC 0EB31D0A
	v_mfma_f32_16x16x32_fp8_fp8 v[176:179], a[12:13], v[128:129], 0// 000000004A2C: D3F300B0 0A03010C
	v_mfma_f32_16x16x32_fp8_fp8 v[176:179], a[14:15], v[130:131], v[176:179]// 000000004A34: D3F300B0 0EC3050E
	buffer_load_dwordx4 a[60:63], v38, s[12:15], 0 offen       // 000000004A3C: E05C1000 80833C26
	s_add_u32 s12, s78, s12                                    // 000000004A44: 800C0C4E
	s_addc_u32 s13, 0, s13                                     // 000000004A48: 820D0D80
	v_mfma_f32_16x16x32_fp8_fp8 v[180:183], a[12:13], v[140:141], 0// 000000004A4C: D3F300B4 0A03190C
	v_mfma_f32_16x16x32_fp8_fp8 v[180:183], a[14:15], v[142:143], v[180:183]// 000000004A54: D3F300B4 0ED31D0E
	s_waitcnt vmcnt(25)                                        // 000000004A5C: BF8C4F79
	v_mfma_f32_16x16x32_fp8_fp8 v[152:155], a[16:17], v[132:133], v[152:155]// 000000004A60: D3F30098 0E630910
	v_mfma_f32_16x16x32_fp8_fp8 v[152:155], a[18:19], v[134:135], v[152:155]// 000000004A68: D3F30098 0E630D12
	buffer_load_dwordx4 a[64:67], v35, s[12:15], 0 offen       // 000000004A70: E05C1000 80834023
	v_mfma_f32_16x16x32_fp8_fp8 v[156:159], a[16:17], v[144:145], v[156:159]// 000000004A78: D3F3009C 0E732110
	v_mfma_f32_16x16x32_fp8_fp8 v[156:159], a[18:19], v[146:147], v[156:159]// 000000004A80: D3F3009C 0E732512
	v_mfma_f32_16x16x32_fp8_fp8 v[160:163], a[20:21], v[132:133], v[160:163]// 000000004A88: D3F300A0 0E830914
	v_mfma_f32_16x16x32_fp8_fp8 v[160:163], a[22:23], v[134:135], v[160:163]// 000000004A90: D3F300A0 0E830D16
	buffer_load_dwordx4 a[68:71], v36, s[12:15], 0 offen       // 000000004A98: E05C1000 80834424
	v_mfma_f32_16x16x32_fp8_fp8 v[164:167], a[20:21], v[144:145], v[164:167]// 000000004AA0: D3F300A4 0E932114
	v_mfma_f32_16x16x32_fp8_fp8 v[164:167], a[22:23], v[146:147], v[164:167]// 000000004AA8: D3F300A4 0E932516
	v_mfma_f32_16x16x32_fp8_fp8 v[168:171], a[24:25], v[132:133], v[168:171]// 000000004AB0: D3F300A8 0EA30918
	v_mfma_f32_16x16x32_fp8_fp8 v[168:171], a[26:27], v[134:135], v[168:171]// 000000004AB8: D3F300A8 0EA30D1A
	buffer_load_dwordx4 a[72:75], v37, s[12:15], 0 offen       // 000000004AC0: E05C1000 80834825
	v_mfma_f32_16x16x32_fp8_fp8 v[172:175], a[24:25], v[144:145], v[172:175]// 000000004AC8: D3F300AC 0EB32118
	v_mfma_f32_16x16x32_fp8_fp8 v[172:175], a[26:27], v[146:147], v[172:175]// 000000004AD0: D3F300AC 0EB3251A
	v_mfma_f32_16x16x32_fp8_fp8 v[176:179], a[28:29], v[132:133], v[176:179]// 000000004AD8: D3F300B0 0EC3091C
	v_mfma_f32_16x16x32_fp8_fp8 v[176:179], a[30:31], v[134:135], v[176:179]// 000000004AE0: D3F300B0 0EC30D1E
	buffer_load_dwordx4 a[76:79], v38, s[12:15], 0 offen       // 000000004AE8: E05C1000 80834C26
	s_add_u32 s12, s78, s12                                    // 000000004AF0: 800C0C4E
	s_addc_u32 s13, 0, s13                                     // 000000004AF4: 820D0D80
	v_mfma_f32_16x16x32_fp8_fp8 v[180:183], a[28:29], v[144:145], v[180:183]// 000000004AF8: D3F300B4 0ED3211C
	v_mfma_f32_16x16x32_fp8_fp8 v[180:183], a[30:31], v[146:147], v[180:183]// 000000004B00: D3F300B4 0ED3251E
	s_waitcnt vmcnt(24)                                        // 000000004B08: BF8C4F78
	v_mfma_f32_16x16x32_fp8_fp8 v[152:155], a[32:33], v[136:137], v[152:155]// 000000004B0C: D3F30098 0E631120
	v_mfma_f32_16x16x32_fp8_fp8 v[152:155], a[34:35], v[138:139], v[152:155]// 000000004B14: D3F30098 0E631522
	buffer_load_dwordx4 a[80:83], v35, s[12:15], 0 offen       // 000000004B1C: E05C1000 80835023
	v_mfma_f32_16x16x32_fp8_fp8 v[156:159], a[32:33], v[148:149], v[156:159]// 000000004B24: D3F3009C 0E732920
	v_mfma_f32_16x16x32_fp8_fp8 v[156:159], a[34:35], v[150:151], v[156:159]// 000000004B2C: D3F3009C 0E732D22
	buffer_load_dword v12, v5, s[16:19], 0 offen               // 000000004B34: E0501000 80040C05
	v_mfma_f32_16x16x32_fp8_fp8 v[160:163], a[36:37], v[136:137], v[160:163]// 000000004B3C: D3F300A0 0E831124
	v_mfma_f32_16x16x32_fp8_fp8 v[160:163], a[38:39], v[138:139], v[160:163]// 000000004B44: D3F300A0 0E831526
	buffer_load_dwordx4 a[84:87], v36, s[12:15], 0 offen       // 000000004B4C: E05C1000 80835424
	v_mfma_f32_16x16x32_fp8_fp8 v[164:167], a[36:37], v[148:149], v[164:167]// 000000004B54: D3F300A4 0E932924
	v_mfma_f32_16x16x32_fp8_fp8 v[164:167], a[38:39], v[150:151], v[164:167]// 000000004B5C: D3F300A4 0E932D26
	v_mfma_f32_16x16x32_fp8_fp8 v[168:171], a[40:41], v[136:137], v[168:171]// 000000004B64: D3F300A8 0EA31128
	v_mfma_f32_16x16x32_fp8_fp8 v[168:171], a[42:43], v[138:139], v[168:171]// 000000004B6C: D3F300A8 0EA3152A
	buffer_load_dwordx4 a[88:91], v37, s[12:15], 0 offen       // 000000004B74: E05C1000 80835825
	v_mfma_f32_16x16x32_fp8_fp8 v[172:175], a[40:41], v[148:149], v[172:175]// 000000004B7C: D3F300AC 0EB32928
	v_mfma_f32_16x16x32_fp8_fp8 v[172:175], a[42:43], v[150:151], v[172:175]// 000000004B84: D3F300AC 0EB32D2A
	v_mfma_f32_16x16x32_fp8_fp8 v[176:179], a[44:45], v[136:137], v[176:179]// 000000004B8C: D3F300B0 0EC3112C
	v_mfma_f32_16x16x32_fp8_fp8 v[176:179], a[46:47], v[138:139], v[176:179]// 000000004B94: D3F300B0 0EC3152E
	buffer_load_dwordx4 a[92:95], v38, s[12:15], 0 offen       // 000000004B9C: E05C1000 80835C26
	v_mfma_f32_16x16x32_fp8_fp8 v[180:183], a[44:45], v[148:149], v[180:183]// 000000004BA4: D3F300B4 0ED3292C
	v_mfma_f32_16x16x32_fp8_fp8 v[180:183], a[46:47], v[150:151], v[180:183]// 000000004BAC: D3F300B4 0ED32D2E
	s_add_u32 s60, 0x200, s80                                  // 000000004BB4: 803C50FF 00000200
	s_cmp_lt_u32 s60, s81                                      // 000000004BBC: BF0A513C
	s_cselect_b32 s56, s56, 0                                  // 000000004BC0: 85388038
	s_cselect_b32 s78, s78, 0                                  // 000000004BC4: 854E804E
	s_cselect_b32 s79, s79, 0                                  // 000000004BC8: 854F804F
	s_add_u32 s12, s56, s12                                    // 000000004BCC: 800C0C38
	s_addc_u32 s13, 0, s13                                     // 000000004BD0: 820D0D80
	s_add_u32 s16, s79, s16                                    // 000000004BD4: 8010104F
	s_addc_u32 s17, 0, s17                                     // 000000004BD8: 82111180
	v_mul_f32_e32 v152, v22, v152                              // 000000004BDC: 0B313116
	v_mul_f32_e32 v153, v22, v153                              // 000000004BE0: 0B333316
	v_mul_f32_e32 v154, v22, v154                              // 000000004BE4: 0B353516
	v_mul_f32_e32 v155, v22, v155                              // 000000004BE8: 0B373716
	v_mul_f32_dpp v152, v11, v152 row_newbcast:0 row_mask:0xf bank_mask:0xf// 000000004BEC: 0B3130FA FF01500B
	v_mul_f32_dpp v153, v11, v153 row_newbcast:1 row_mask:0xf bank_mask:0xf// 000000004BF4: 0B3332FA FF01510B
	v_mul_f32_dpp v154, v11, v154 row_newbcast:2 row_mask:0xf bank_mask:0xf// 000000004BFC: 0B3534FA FF01520B
	v_mul_f32_dpp v155, v11, v155 row_newbcast:3 row_mask:0xf bank_mask:0xf// 000000004C04: 0B3736FA FF01530B
	v_mul_f32_e32 v156, v23, v156                              // 000000004C0C: 0B393917
	v_mul_f32_e32 v157, v23, v157                              // 000000004C10: 0B3B3B17
	v_mul_f32_e32 v158, v23, v158                              // 000000004C14: 0B3D3D17
	v_mul_f32_e32 v159, v23, v159                              // 000000004C18: 0B3F3F17
	v_mul_f32_dpp v156, v11, v156 row_newbcast:0 row_mask:0xf bank_mask:0xf// 000000004C1C: 0B3938FA FF01500B
	v_mul_f32_dpp v157, v11, v157 row_newbcast:1 row_mask:0xf bank_mask:0xf// 000000004C24: 0B3B3AFA FF01510B
	v_mul_f32_dpp v158, v11, v158 row_newbcast:2 row_mask:0xf bank_mask:0xf// 000000004C2C: 0B3D3CFA FF01520B
	v_mul_f32_dpp v159, v11, v159 row_newbcast:3 row_mask:0xf bank_mask:0xf// 000000004C34: 0B3F3EFA FF01530B
	v_mul_f32_e32 v160, v22, v160                              // 000000004C3C: 0B414116
	v_mul_f32_e32 v161, v22, v161                              // 000000004C40: 0B434316
	v_mul_f32_e32 v162, v22, v162                              // 000000004C44: 0B454516
	v_mul_f32_e32 v163, v22, v163                              // 000000004C48: 0B474716
	v_mul_f32_dpp v160, v11, v160 row_newbcast:4 row_mask:0xf bank_mask:0xf// 000000004C4C: 0B4140FA FF01540B
	v_mul_f32_dpp v161, v11, v161 row_newbcast:5 row_mask:0xf bank_mask:0xf// 000000004C54: 0B4342FA FF01550B
	v_mul_f32_dpp v162, v11, v162 row_newbcast:6 row_mask:0xf bank_mask:0xf// 000000004C5C: 0B4544FA FF01560B
	v_mul_f32_dpp v163, v11, v163 row_newbcast:7 row_mask:0xf bank_mask:0xf// 000000004C64: 0B4746FA FF01570B
	v_mul_f32_e32 v164, v23, v164                              // 000000004C6C: 0B494917
	v_mul_f32_e32 v165, v23, v165                              // 000000004C70: 0B4B4B17
	v_mul_f32_e32 v166, v23, v166                              // 000000004C74: 0B4D4D17
	v_mul_f32_e32 v167, v23, v167                              // 000000004C78: 0B4F4F17
	v_mul_f32_dpp v164, v11, v164 row_newbcast:4 row_mask:0xf bank_mask:0xf// 000000004C7C: 0B4948FA FF01540B
	v_mul_f32_dpp v165, v11, v165 row_newbcast:5 row_mask:0xf bank_mask:0xf// 000000004C84: 0B4B4AFA FF01550B
	v_mul_f32_dpp v166, v11, v166 row_newbcast:6 row_mask:0xf bank_mask:0xf// 000000004C8C: 0B4D4CFA FF01560B
	v_mul_f32_dpp v167, v11, v167 row_newbcast:7 row_mask:0xf bank_mask:0xf// 000000004C94: 0B4F4EFA FF01570B
	v_mul_f32_e32 v168, v22, v168                              // 000000004C9C: 0B515116
	v_mul_f32_e32 v169, v22, v169                              // 000000004CA0: 0B535316
	v_mul_f32_e32 v170, v22, v170                              // 000000004CA4: 0B555516
	v_mul_f32_e32 v171, v22, v171                              // 000000004CA8: 0B575716
	v_mul_f32_dpp v168, v11, v168 row_newbcast:8 row_mask:0xf bank_mask:0xf// 000000004CAC: 0B5150FA FF01580B
	v_mul_f32_dpp v169, v11, v169 row_newbcast:9 row_mask:0xf bank_mask:0xf// 000000004CB4: 0B5352FA FF01590B
	v_mul_f32_dpp v170, v11, v170 row_newbcast:10 row_mask:0xf bank_mask:0xf// 000000004CBC: 0B5554FA FF015A0B
	v_mul_f32_dpp v171, v11, v171 row_newbcast:11 row_mask:0xf bank_mask:0xf// 000000004CC4: 0B5756FA FF015B0B
	v_mul_f32_e32 v172, v23, v172                              // 000000004CCC: 0B595917
	v_mul_f32_e32 v173, v23, v173                              // 000000004CD0: 0B5B5B17
	v_mul_f32_e32 v174, v23, v174                              // 000000004CD4: 0B5D5D17
	v_mul_f32_e32 v175, v23, v175                              // 000000004CD8: 0B5F5F17
	v_mul_f32_dpp v172, v11, v172 row_newbcast:8 row_mask:0xf bank_mask:0xf// 000000004CDC: 0B5958FA FF01580B
	v_mul_f32_dpp v173, v11, v173 row_newbcast:9 row_mask:0xf bank_mask:0xf// 000000004CE4: 0B5B5AFA FF01590B
	v_mul_f32_dpp v174, v11, v174 row_newbcast:10 row_mask:0xf bank_mask:0xf// 000000004CEC: 0B5D5CFA FF015A0B
	v_mul_f32_dpp v175, v11, v175 row_newbcast:11 row_mask:0xf bank_mask:0xf// 000000004CF4: 0B5F5EFA FF015B0B
	v_mul_f32_e32 v176, v22, v176                              // 000000004CFC: 0B616116
	v_mul_f32_e32 v177, v22, v177                              // 000000004D00: 0B636316
	v_mul_f32_e32 v178, v22, v178                              // 000000004D04: 0B656516
	v_mul_f32_e32 v179, v22, v179                              // 000000004D08: 0B676716
	v_mul_f32_dpp v176, v11, v176 row_newbcast:12 row_mask:0xf bank_mask:0xf// 000000004D0C: 0B6160FA FF015C0B
	v_mul_f32_dpp v177, v11, v177 row_newbcast:13 row_mask:0xf bank_mask:0xf// 000000004D14: 0B6362FA FF015D0B
	v_mul_f32_dpp v178, v11, v178 row_newbcast:14 row_mask:0xf bank_mask:0xf// 000000004D1C: 0B6564FA FF015E0B
	v_mul_f32_dpp v179, v11, v179 row_newbcast:15 row_mask:0xf bank_mask:0xf// 000000004D24: 0B6766FA FF015F0B
	v_mul_f32_e32 v180, v23, v180                              // 000000004D2C: 0B696917
	v_mul_f32_e32 v181, v23, v181                              // 000000004D30: 0B6B6B17
	v_mul_f32_e32 v182, v23, v182                              // 000000004D34: 0B6D6D17
	v_mul_f32_e32 v183, v23, v183                              // 000000004D38: 0B6F6F17
	v_mul_f32_dpp v180, v11, v180 row_newbcast:12 row_mask:0xf bank_mask:0xf// 000000004D3C: 0B6968FA FF015C0B
	v_mul_f32_dpp v181, v11, v181 row_newbcast:13 row_mask:0xf bank_mask:0xf// 000000004D44: 0B6B6AFA FF015D0B
	v_mul_f32_dpp v182, v11, v182 row_newbcast:14 row_mask:0xf bank_mask:0xf// 000000004D4C: 0B6D6CFA FF015E0B
	v_mul_f32_dpp v183, v11, v183 row_newbcast:15 row_mask:0xf bank_mask:0xf// 000000004D54: 0B6F6EFA FF015F0B
	v_cmp_u_f32_e64 s[48:49], v152, v152                       // 000000004D5C: D0480030 00033198
	v_add3_u32 v39, v152, v42, 1                               // 000000004D64: D1FF0027 02065598
	v_cndmask_b32_e64 v44, v39, v41, s[48:49]                  // 000000004D6C: D100002C 00C25327
	v_cmp_u_f32_e64 s[48:49], v153, v153                       // 000000004D74: D0480030 00033399
	v_add3_u32 v39, v153, v42, 1                               // 000000004D7C: D1FF0027 02065599
	v_cndmask_b32_e64 v45, v39, v41, s[48:49]                  // 000000004D84: D100002D 00C25327
	v_perm_b32 v152, v45, v44, s52                             // 000000004D8C: D1ED0098 00D2592D
	v_cmp_u_f32_e64 s[48:49], v154, v154                       // 000000004D94: D0480030 0003359A
	v_add3_u32 v39, v154, v42, 1                               // 000000004D9C: D1FF0027 0206559A
	v_cndmask_b32_e64 v44, v39, v41, s[48:49]                  // 000000004DA4: D100002C 00C25327
	v_cmp_u_f32_e64 s[48:49], v155, v155                       // 000000004DAC: D0480030 0003379B
	v_add3_u32 v39, v155, v42, 1                               // 000000004DB4: D1FF0027 0206559B
	v_cndmask_b32_e64 v45, v39, v41, s[48:49]                  // 000000004DBC: D100002D 00C25327
	v_perm_b32 v153, v45, v44, s52                             // 000000004DC4: D1ED0099 00D2592D
	v_cmp_u_f32_e64 s[48:49], v156, v156                       // 000000004DCC: D0480030 0003399C
	v_add3_u32 v39, v156, v42, 1                               // 000000004DD4: D1FF0027 0206559C
	v_cndmask_b32_e64 v44, v39, v41, s[48:49]                  // 000000004DDC: D100002C 00C25327
	v_cmp_u_f32_e64 s[48:49], v157, v157                       // 000000004DE4: D0480030 00033B9D
	v_add3_u32 v39, v157, v42, 1                               // 000000004DEC: D1FF0027 0206559D
	v_cndmask_b32_e64 v45, v39, v41, s[48:49]                  // 000000004DF4: D100002D 00C25327
	v_perm_b32 v154, v45, v44, s52                             // 000000004DFC: D1ED009A 00D2592D
	v_cmp_u_f32_e64 s[48:49], v158, v158                       // 000000004E04: D0480030 00033D9E
	v_add3_u32 v39, v158, v42, 1                               // 000000004E0C: D1FF0027 0206559E
	v_cndmask_b32_e64 v44, v39, v41, s[48:49]                  // 000000004E14: D100002C 00C25327
	v_cmp_u_f32_e64 s[48:49], v159, v159                       // 000000004E1C: D0480030 00033F9F
	v_add3_u32 v39, v159, v42, 1                               // 000000004E24: D1FF0027 0206559F
	v_cndmask_b32_e64 v45, v39, v41, s[48:49]                  // 000000004E2C: D100002D 00C25327
	v_perm_b32 v155, v45, v44, s52                             // 000000004E34: D1ED009B 00D2592D
	v_cmp_u_f32_e64 s[48:49], v160, v160                       // 000000004E3C: D0480030 000341A0
	v_add3_u32 v39, v160, v42, 1                               // 000000004E44: D1FF0027 020655A0
	v_cndmask_b32_e64 v44, v39, v41, s[48:49]                  // 000000004E4C: D100002C 00C25327
	v_cmp_u_f32_e64 s[48:49], v161, v161                       // 000000004E54: D0480030 000343A1
	v_add3_u32 v39, v161, v42, 1                               // 000000004E5C: D1FF0027 020655A1
	v_cndmask_b32_e64 v45, v39, v41, s[48:49]                  // 000000004E64: D100002D 00C25327
	v_perm_b32 v156, v45, v44, s52                             // 000000004E6C: D1ED009C 00D2592D
	v_cmp_u_f32_e64 s[48:49], v162, v162                       // 000000004E74: D0480030 000345A2
	v_add3_u32 v39, v162, v42, 1                               // 000000004E7C: D1FF0027 020655A2
	v_cndmask_b32_e64 v44, v39, v41, s[48:49]                  // 000000004E84: D100002C 00C25327
	v_cmp_u_f32_e64 s[48:49], v163, v163                       // 000000004E8C: D0480030 000347A3
	v_add3_u32 v39, v163, v42, 1                               // 000000004E94: D1FF0027 020655A3
	v_cndmask_b32_e64 v45, v39, v41, s[48:49]                  // 000000004E9C: D100002D 00C25327
	v_perm_b32 v157, v45, v44, s52                             // 000000004EA4: D1ED009D 00D2592D
	v_cmp_u_f32_e64 s[48:49], v164, v164                       // 000000004EAC: D0480030 000349A4
	v_add3_u32 v39, v164, v42, 1                               // 000000004EB4: D1FF0027 020655A4
	v_cndmask_b32_e64 v44, v39, v41, s[48:49]                  // 000000004EBC: D100002C 00C25327
	v_cmp_u_f32_e64 s[48:49], v165, v165                       // 000000004EC4: D0480030 00034BA5
	v_add3_u32 v39, v165, v42, 1                               // 000000004ECC: D1FF0027 020655A5
	v_cndmask_b32_e64 v45, v39, v41, s[48:49]                  // 000000004ED4: D100002D 00C25327
	v_perm_b32 v158, v45, v44, s52                             // 000000004EDC: D1ED009E 00D2592D
	v_cmp_u_f32_e64 s[48:49], v166, v166                       // 000000004EE4: D0480030 00034DA6
	v_add3_u32 v39, v166, v42, 1                               // 000000004EEC: D1FF0027 020655A6
	v_cndmask_b32_e64 v44, v39, v41, s[48:49]                  // 000000004EF4: D100002C 00C25327
	v_cmp_u_f32_e64 s[48:49], v167, v167                       // 000000004EFC: D0480030 00034FA7
	v_add3_u32 v39, v167, v42, 1                               // 000000004F04: D1FF0027 020655A7
	v_cndmask_b32_e64 v45, v39, v41, s[48:49]                  // 000000004F0C: D100002D 00C25327
	v_perm_b32 v159, v45, v44, s52                             // 000000004F14: D1ED009F 00D2592D
	v_cmp_u_f32_e64 s[48:49], v168, v168                       // 000000004F1C: D0480030 000351A8
	v_add3_u32 v39, v168, v42, 1                               // 000000004F24: D1FF0027 020655A8
	v_cndmask_b32_e64 v44, v39, v41, s[48:49]                  // 000000004F2C: D100002C 00C25327
	v_cmp_u_f32_e64 s[48:49], v169, v169                       // 000000004F34: D0480030 000353A9
	v_add3_u32 v39, v169, v42, 1                               // 000000004F3C: D1FF0027 020655A9
	v_cndmask_b32_e64 v45, v39, v41, s[48:49]                  // 000000004F44: D100002D 00C25327
	v_perm_b32 v160, v45, v44, s52                             // 000000004F4C: D1ED00A0 00D2592D
	v_cmp_u_f32_e64 s[48:49], v170, v170                       // 000000004F54: D0480030 000355AA
	v_add3_u32 v39, v170, v42, 1                               // 000000004F5C: D1FF0027 020655AA
	v_cndmask_b32_e64 v44, v39, v41, s[48:49]                  // 000000004F64: D100002C 00C25327
	v_cmp_u_f32_e64 s[48:49], v171, v171                       // 000000004F6C: D0480030 000357AB
	v_add3_u32 v39, v171, v42, 1                               // 000000004F74: D1FF0027 020655AB
	v_cndmask_b32_e64 v45, v39, v41, s[48:49]                  // 000000004F7C: D100002D 00C25327
	v_perm_b32 v161, v45, v44, s52                             // 000000004F84: D1ED00A1 00D2592D
	v_cmp_u_f32_e64 s[48:49], v172, v172                       // 000000004F8C: D0480030 000359AC
	v_add3_u32 v39, v172, v42, 1                               // 000000004F94: D1FF0027 020655AC
	v_cndmask_b32_e64 v44, v39, v41, s[48:49]                  // 000000004F9C: D100002C 00C25327
	v_cmp_u_f32_e64 s[48:49], v173, v173                       // 000000004FA4: D0480030 00035BAD
	v_add3_u32 v39, v173, v42, 1                               // 000000004FAC: D1FF0027 020655AD
	v_cndmask_b32_e64 v45, v39, v41, s[48:49]                  // 000000004FB4: D100002D 00C25327
	v_perm_b32 v162, v45, v44, s52                             // 000000004FBC: D1ED00A2 00D2592D
	v_cmp_u_f32_e64 s[48:49], v174, v174                       // 000000004FC4: D0480030 00035DAE
	v_add3_u32 v39, v174, v42, 1                               // 000000004FCC: D1FF0027 020655AE
	v_cndmask_b32_e64 v44, v39, v41, s[48:49]                  // 000000004FD4: D100002C 00C25327
	v_cmp_u_f32_e64 s[48:49], v175, v175                       // 000000004FDC: D0480030 00035FAF
	v_add3_u32 v39, v175, v42, 1                               // 000000004FE4: D1FF0027 020655AF
	v_cndmask_b32_e64 v45, v39, v41, s[48:49]                  // 000000004FEC: D100002D 00C25327
	v_perm_b32 v163, v45, v44, s52                             // 000000004FF4: D1ED00A3 00D2592D
	v_cmp_u_f32_e64 s[48:49], v176, v176                       // 000000004FFC: D0480030 000361B0
	v_add3_u32 v39, v176, v42, 1                               // 000000005004: D1FF0027 020655B0
	v_cndmask_b32_e64 v44, v39, v41, s[48:49]                  // 00000000500C: D100002C 00C25327
	v_cmp_u_f32_e64 s[48:49], v177, v177                       // 000000005014: D0480030 000363B1
	v_add3_u32 v39, v177, v42, 1                               // 00000000501C: D1FF0027 020655B1
	v_cndmask_b32_e64 v45, v39, v41, s[48:49]                  // 000000005024: D100002D 00C25327
	v_perm_b32 v164, v45, v44, s52                             // 00000000502C: D1ED00A4 00D2592D
	v_cmp_u_f32_e64 s[48:49], v178, v178                       // 000000005034: D0480030 000365B2
	v_add3_u32 v39, v178, v42, 1                               // 00000000503C: D1FF0027 020655B2
	v_cndmask_b32_e64 v44, v39, v41, s[48:49]                  // 000000005044: D100002C 00C25327
	v_cmp_u_f32_e64 s[48:49], v179, v179                       // 00000000504C: D0480030 000367B3
	v_add3_u32 v39, v179, v42, 1                               // 000000005054: D1FF0027 020655B3
	v_cndmask_b32_e64 v45, v39, v41, s[48:49]                  // 00000000505C: D100002D 00C25327
	v_perm_b32 v165, v45, v44, s52                             // 000000005064: D1ED00A5 00D2592D
	v_cmp_u_f32_e64 s[48:49], v180, v180                       // 00000000506C: D0480030 000369B4
	v_add3_u32 v39, v180, v42, 1                               // 000000005074: D1FF0027 020655B4
	v_cndmask_b32_e64 v44, v39, v41, s[48:49]                  // 00000000507C: D100002C 00C25327
	v_cmp_u_f32_e64 s[48:49], v181, v181                       // 000000005084: D0480030 00036BB5
	v_add3_u32 v39, v181, v42, 1                               // 00000000508C: D1FF0027 020655B5
	v_cndmask_b32_e64 v45, v39, v41, s[48:49]                  // 000000005094: D100002D 00C25327
	v_perm_b32 v166, v45, v44, s52                             // 00000000509C: D1ED00A6 00D2592D
	v_cmp_u_f32_e64 s[48:49], v182, v182                       // 0000000050A4: D0480030 00036DB6
	v_add3_u32 v39, v182, v42, 1                               // 0000000050AC: D1FF0027 020655B6
	v_cndmask_b32_e64 v44, v39, v41, s[48:49]                  // 0000000050B4: D100002C 00C25327
	v_cmp_u_f32_e64 s[48:49], v183, v183                       // 0000000050BC: D0480030 00036FB7
	v_add3_u32 v39, v183, v42, 1                               // 0000000050C4: D1FF0027 020655B7
	v_cndmask_b32_e64 v45, v39, v41, s[48:49]                  // 0000000050CC: D100002D 00C25327
	v_perm_b32 v167, v45, v44, s52                             // 0000000050D4: D1ED00A7 00D2592D
	ds_write_b64 v3, v[152:153] offset:24832                   // 0000000050DC: D89A6100 00009803
	ds_write_b64 v3, v[154:155] offset:33536                   // 0000000050E4: D89A8300 00009A03
	ds_write_b64 v3, v[156:157] offset:27008                   // 0000000050EC: D89A6980 00009C03
	ds_write_b64 v3, v[158:159] offset:35712                   // 0000000050F4: D89A8B80 00009E03
	ds_write_b64 v3, v[160:161] offset:29184                   // 0000000050FC: D89A7200 0000A003
	ds_write_b64 v3, v[162:163] offset:37888                   // 000000005104: D89A9400 0000A203
	ds_write_b64 v3, v[164:165] offset:31360                   // 00000000510C: D89A7A80 0000A403
	ds_write_b64 v3, v[166:167] offset:40064                   // 000000005114: D89A9C80 0000A603
	s_waitcnt lgkmcnt(0)                                       // 00000000511C: BF8CC07F
	s_barrier                                                  // 000000005120: BF8A0000
	ds_read_b32 v64, v4 offset:24832                           // 000000005124: D86C6100 40000004
	ds_read_b32 v65, v4 offset:29184                           // 00000000512C: D86C7200 41000004
	ds_read_b32 v66, v4 offset:24864                           // 000000005134: D86C6120 42000004
	ds_read_b32 v67, v4 offset:29216                           // 00000000513C: D86C7220 43000004
	ds_read_b32 v68, v4 offset:24896                           // 000000005144: D86C6140 44000004
	ds_read_b32 v69, v4 offset:29248                           // 00000000514C: D86C7240 45000004
	ds_read_b32 v70, v4 offset:24928                           // 000000005154: D86C6160 46000004
	ds_read_b32 v71, v4 offset:29280                           // 00000000515C: D86C7260 47000004
	ds_read_b32 v72, v4 offset:33536                           // 000000005164: D86C8300 48000004
	ds_read_b32 v73, v4 offset:37888                           // 00000000516C: D86C9400 49000004
	ds_read_b32 v74, v4 offset:33568                           // 000000005174: D86C8320 4A000004
	ds_read_b32 v75, v4 offset:37920                           // 00000000517C: D86C9420 4B000004
	ds_read_b32 v76, v4 offset:33600                           // 000000005184: D86C8340 4C000004
	ds_read_b32 v77, v4 offset:37952                           // 00000000518C: D86C9440 4D000004
	ds_read_b32 v78, v4 offset:33632                           // 000000005194: D86C8360 4E000004
	ds_read_b32 v79, v4 offset:37984                           // 00000000519C: D86C9460 4F000004
	s_waitcnt lgkmcnt(0)                                       // 0000000051A4: BF8CC07F
	s_mov_b64 exec, s[20:21]                                   // 0000000051A8: BEFE0114
	global_atomic_pk_add_bf16 v80, v64, s[8:9]                 // 0000000051AC: DD488000 00084050
	s_mov_b64 exec, s[36:37]                                   // 0000000051B4: BEFE0124
	s_mov_b64 exec, s[20:21]                                   // 0000000051B8: BEFE0114
	global_atomic_pk_add_bf16 v80, v65, s[8:9] offset:256      // 0000000051BC: DD488100 00084150
	s_mov_b64 exec, s[36:37]                                   // 0000000051C4: BEFE0124
	s_mov_b64 exec, s[22:23]                                   // 0000000051C8: BEFE0116
	global_atomic_pk_add_bf16 v82, v66, s[8:9]                 // 0000000051CC: DD488000 00084252
	s_mov_b64 exec, s[36:37]                                   // 0000000051D4: BEFE0124
	s_mov_b64 exec, s[22:23]                                   // 0000000051D8: BEFE0116
	global_atomic_pk_add_bf16 v82, v67, s[8:9] offset:256      // 0000000051DC: DD488100 00084352
	s_mov_b64 exec, s[36:37]                                   // 0000000051E4: BEFE0124
	s_mov_b64 exec, s[24:25]                                   // 0000000051E8: BEFE0118
	global_atomic_pk_add_bf16 v84, v68, s[8:9]                 // 0000000051EC: DD488000 00084454
	s_mov_b64 exec, s[36:37]                                   // 0000000051F4: BEFE0124
	s_mov_b64 exec, s[24:25]                                   // 0000000051F8: BEFE0118
	global_atomic_pk_add_bf16 v84, v69, s[8:9] offset:256      // 0000000051FC: DD488100 00084554
	s_mov_b64 exec, s[36:37]                                   // 000000005204: BEFE0124
	s_mov_b64 exec, s[26:27]                                   // 000000005208: BEFE011A
	global_atomic_pk_add_bf16 v86, v70, s[8:9]                 // 00000000520C: DD488000 00084656
	s_mov_b64 exec, s[36:37]                                   // 000000005214: BEFE0124
	s_mov_b64 exec, s[26:27]                                   // 000000005218: BEFE011A
	global_atomic_pk_add_bf16 v86, v71, s[8:9] offset:256      // 00000000521C: DD488100 00084756
	s_mov_b64 exec, s[36:37]                                   // 000000005224: BEFE0124
	s_mov_b64 exec, s[28:29]                                   // 000000005228: BEFE011C
	global_atomic_pk_add_bf16 v88, v72, s[8:9]                 // 00000000522C: DD488000 00084858
	s_mov_b64 exec, s[36:37]                                   // 000000005234: BEFE0124
	s_mov_b64 exec, s[28:29]                                   // 000000005238: BEFE011C
	global_atomic_pk_add_bf16 v88, v73, s[8:9] offset:256      // 00000000523C: DD488100 00084958
	s_mov_b64 exec, s[36:37]                                   // 000000005244: BEFE0124
	s_mov_b64 exec, s[30:31]                                   // 000000005248: BEFE011E
	global_atomic_pk_add_bf16 v90, v74, s[8:9]                 // 00000000524C: DD488000 00084A5A
	s_mov_b64 exec, s[36:37]                                   // 000000005254: BEFE0124
	s_mov_b64 exec, s[30:31]                                   // 000000005258: BEFE011E
	global_atomic_pk_add_bf16 v90, v75, s[8:9] offset:256      // 00000000525C: DD488100 00084B5A
	s_mov_b64 exec, s[36:37]                                   // 000000005264: BEFE0124
	s_mov_b64 exec, s[32:33]                                   // 000000005268: BEFE0120
	global_atomic_pk_add_bf16 v92, v76, s[8:9]                 // 00000000526C: DD488000 00084C5C
	s_mov_b64 exec, s[36:37]                                   // 000000005274: BEFE0124
	s_mov_b64 exec, s[32:33]                                   // 000000005278: BEFE0120
	global_atomic_pk_add_bf16 v92, v77, s[8:9] offset:256      // 00000000527C: DD488100 00084D5C
	s_mov_b64 exec, s[36:37]                                   // 000000005284: BEFE0124
	s_mov_b64 exec, s[34:35]                                   // 000000005288: BEFE0122
	global_atomic_pk_add_bf16 v94, v78, s[8:9]                 // 00000000528C: DD488000 00084E5E
	s_mov_b64 exec, s[36:37]                                   // 000000005294: BEFE0124
	s_mov_b64 exec, s[34:35]                                   // 000000005298: BEFE0122
	global_atomic_pk_add_bf16 v94, v79, s[8:9] offset:256      // 00000000529C: DD488100 00084F5E
	s_mov_b64 exec, s[36:37]                                   // 0000000052A4: BEFE0124
	s_add_u32 s8, s59, s8                                      // 0000000052A8: 8008083B
	s_addc_u32 s9, 0, s9                                       // 0000000052AC: 82090980
	s_addk_i32 s80, 0x100                                      // 0000000052B0: B7500100
	s_cmp_lt_i32 s80, s81                                      // 0000000052B4: BF045150
	s_cbranch_scc0 label_0C34                                  // 0000000052B8: BF840245
	s_waitcnt vmcnt(25)                                        // 0000000052BC: BF8C4F79
	s_barrier                                                  // 0000000052C0: BF8A0000
	v_mfma_f32_16x16x32_fp8_fp8 v[184:187], a[48:49], v[128:129], 0// 0000000052C4: D3F300B8 0A030130
	v_mfma_f32_16x16x32_fp8_fp8 v[184:187], a[50:51], v[130:131], v[184:187]// 0000000052CC: D3F300B8 0EE30532
	buffer_load_dwordx4 a[0:3], v35, s[12:15], 0 offen         // 0000000052D4: E05C1000 80830023
	v_mfma_f32_16x16x32_fp8_fp8 v[188:191], a[48:49], v[140:141], 0// 0000000052DC: D3F300BC 0A031930
	v_mfma_f32_16x16x32_fp8_fp8 v[188:191], a[50:51], v[142:143], v[188:191]// 0000000052E4: D3F300BC 0EF31D32
	v_mfma_f32_16x16x32_fp8_fp8 v[192:195], a[52:53], v[128:129], 0// 0000000052EC: D3F300C0 0A030134
	v_mfma_f32_16x16x32_fp8_fp8 v[192:195], a[54:55], v[130:131], v[192:195]// 0000000052F4: D3F300C0 0F030536
	buffer_load_dwordx4 a[4:7], v36, s[12:15], 0 offen         // 0000000052FC: E05C1000 80830424
	v_mfma_f32_16x16x32_fp8_fp8 v[196:199], a[52:53], v[140:141], 0// 000000005304: D3F300C4 0A031934
	v_mfma_f32_16x16x32_fp8_fp8 v[196:199], a[54:55], v[142:143], v[196:199]// 00000000530C: D3F300C4 0F131D36
	v_mfma_f32_16x16x32_fp8_fp8 v[200:203], a[56:57], v[128:129], 0// 000000005314: D3F300C8 0A030138
	v_mfma_f32_16x16x32_fp8_fp8 v[200:203], a[58:59], v[130:131], v[200:203]// 00000000531C: D3F300C8 0F23053A
	buffer_load_dwordx4 a[8:11], v37, s[12:15], 0 offen        // 000000005324: E05C1000 80830825
	v_mfma_f32_16x16x32_fp8_fp8 v[204:207], a[56:57], v[140:141], 0// 00000000532C: D3F300CC 0A031938
	v_mfma_f32_16x16x32_fp8_fp8 v[204:207], a[58:59], v[142:143], v[204:207]// 000000005334: D3F300CC 0F331D3A
	v_mfma_f32_16x16x32_fp8_fp8 v[208:211], a[60:61], v[128:129], 0// 00000000533C: D3F300D0 0A03013C
	v_mfma_f32_16x16x32_fp8_fp8 v[208:211], a[62:63], v[130:131], v[208:211]// 000000005344: D3F300D0 0F43053E
	buffer_load_dwordx4 a[12:15], v38, s[12:15], 0 offen       // 00000000534C: E05C1000 80830C26
	s_add_u32 s12, s78, s12                                    // 000000005354: 800C0C4E
	s_addc_u32 s13, 0, s13                                     // 000000005358: 820D0D80
	v_mfma_f32_16x16x32_fp8_fp8 v[212:215], a[60:61], v[140:141], 0// 00000000535C: D3F300D4 0A03193C
	v_mfma_f32_16x16x32_fp8_fp8 v[212:215], a[62:63], v[142:143], v[212:215]// 000000005364: D3F300D4 0F531D3E
	s_waitcnt vmcnt(25)                                        // 00000000536C: BF8C4F79
	v_mfma_f32_16x16x32_fp8_fp8 v[184:187], a[64:65], v[132:133], v[184:187]// 000000005370: D3F300B8 0EE30940
	v_mfma_f32_16x16x32_fp8_fp8 v[184:187], a[66:67], v[134:135], v[184:187]// 000000005378: D3F300B8 0EE30D42
	buffer_load_dwordx4 a[16:19], v35, s[12:15], 0 offen       // 000000005380: E05C1000 80831023
	v_mfma_f32_16x16x32_fp8_fp8 v[188:191], a[64:65], v[144:145], v[188:191]// 000000005388: D3F300BC 0EF32140
	v_mfma_f32_16x16x32_fp8_fp8 v[188:191], a[66:67], v[146:147], v[188:191]// 000000005390: D3F300BC 0EF32542
	v_mfma_f32_16x16x32_fp8_fp8 v[192:195], a[68:69], v[132:133], v[192:195]// 000000005398: D3F300C0 0F030944
	v_mfma_f32_16x16x32_fp8_fp8 v[192:195], a[70:71], v[134:135], v[192:195]// 0000000053A0: D3F300C0 0F030D46
	buffer_load_dwordx4 a[20:23], v36, s[12:15], 0 offen       // 0000000053A8: E05C1000 80831424
	v_mfma_f32_16x16x32_fp8_fp8 v[196:199], a[68:69], v[144:145], v[196:199]// 0000000053B0: D3F300C4 0F132144
	v_mfma_f32_16x16x32_fp8_fp8 v[196:199], a[70:71], v[146:147], v[196:199]// 0000000053B8: D3F300C4 0F132546
	v_mfma_f32_16x16x32_fp8_fp8 v[200:203], a[72:73], v[132:133], v[200:203]// 0000000053C0: D3F300C8 0F230948
	v_mfma_f32_16x16x32_fp8_fp8 v[200:203], a[74:75], v[134:135], v[200:203]// 0000000053C8: D3F300C8 0F230D4A
	buffer_load_dwordx4 a[24:27], v37, s[12:15], 0 offen       // 0000000053D0: E05C1000 80831825
	v_mfma_f32_16x16x32_fp8_fp8 v[204:207], a[72:73], v[144:145], v[204:207]// 0000000053D8: D3F300CC 0F332148
	v_mfma_f32_16x16x32_fp8_fp8 v[204:207], a[74:75], v[146:147], v[204:207]// 0000000053E0: D3F300CC 0F33254A
	v_mfma_f32_16x16x32_fp8_fp8 v[208:211], a[76:77], v[132:133], v[208:211]// 0000000053E8: D3F300D0 0F43094C
	v_mfma_f32_16x16x32_fp8_fp8 v[208:211], a[78:79], v[134:135], v[208:211]// 0000000053F0: D3F300D0 0F430D4E
	buffer_load_dwordx4 a[28:31], v38, s[12:15], 0 offen       // 0000000053F8: E05C1000 80831C26
	s_add_u32 s12, s78, s12                                    // 000000005400: 800C0C4E
	s_addc_u32 s13, 0, s13                                     // 000000005404: 820D0D80
	v_mfma_f32_16x16x32_fp8_fp8 v[212:215], a[76:77], v[144:145], v[212:215]// 000000005408: D3F300D4 0F53214C
	v_mfma_f32_16x16x32_fp8_fp8 v[212:215], a[78:79], v[146:147], v[212:215]// 000000005410: D3F300D4 0F53254E
	s_waitcnt vmcnt(24)                                        // 000000005418: BF8C4F78
	v_mfma_f32_16x16x32_fp8_fp8 v[184:187], a[80:81], v[136:137], v[184:187]// 00000000541C: D3F300B8 0EE31150
	v_mfma_f32_16x16x32_fp8_fp8 v[184:187], a[82:83], v[138:139], v[184:187]// 000000005424: D3F300B8 0EE31552
	buffer_load_dwordx4 a[32:35], v35, s[12:15], 0 offen       // 00000000542C: E05C1000 80832023
	v_mfma_f32_16x16x32_fp8_fp8 v[188:191], a[80:81], v[148:149], v[188:191]// 000000005434: D3F300BC 0EF32950
	v_mfma_f32_16x16x32_fp8_fp8 v[188:191], a[82:83], v[150:151], v[188:191]// 00000000543C: D3F300BC 0EF32D52
	buffer_load_dword v11, v5, s[16:19], 0 offen               // 000000005444: E0501000 80040B05
	v_mfma_f32_16x16x32_fp8_fp8 v[192:195], a[84:85], v[136:137], v[192:195]// 00000000544C: D3F300C0 0F031154
	v_mfma_f32_16x16x32_fp8_fp8 v[192:195], a[86:87], v[138:139], v[192:195]// 000000005454: D3F300C0 0F031556
	buffer_load_dwordx4 a[36:39], v36, s[12:15], 0 offen       // 00000000545C: E05C1000 80832424
	v_mfma_f32_16x16x32_fp8_fp8 v[196:199], a[84:85], v[148:149], v[196:199]// 000000005464: D3F300C4 0F132954
	v_mfma_f32_16x16x32_fp8_fp8 v[196:199], a[86:87], v[150:151], v[196:199]// 00000000546C: D3F300C4 0F132D56
	v_mfma_f32_16x16x32_fp8_fp8 v[200:203], a[88:89], v[136:137], v[200:203]// 000000005474: D3F300C8 0F231158
	v_mfma_f32_16x16x32_fp8_fp8 v[200:203], a[90:91], v[138:139], v[200:203]// 00000000547C: D3F300C8 0F23155A
	buffer_load_dwordx4 a[40:43], v37, s[12:15], 0 offen       // 000000005484: E05C1000 80832825
	v_mfma_f32_16x16x32_fp8_fp8 v[204:207], a[88:89], v[148:149], v[204:207]// 00000000548C: D3F300CC 0F332958
	v_mfma_f32_16x16x32_fp8_fp8 v[204:207], a[90:91], v[150:151], v[204:207]// 000000005494: D3F300CC 0F332D5A
	v_mfma_f32_16x16x32_fp8_fp8 v[208:211], a[92:93], v[136:137], v[208:211]// 00000000549C: D3F300D0 0F43115C
	v_mfma_f32_16x16x32_fp8_fp8 v[208:211], a[94:95], v[138:139], v[208:211]// 0000000054A4: D3F300D0 0F43155E
	buffer_load_dwordx4 a[44:47], v38, s[12:15], 0 offen       // 0000000054AC: E05C1000 80832C26
	v_mfma_f32_16x16x32_fp8_fp8 v[212:215], a[92:93], v[148:149], v[212:215]// 0000000054B4: D3F300D4 0F53295C
	v_mfma_f32_16x16x32_fp8_fp8 v[212:215], a[94:95], v[150:151], v[212:215]// 0000000054BC: D3F300D4 0F532D5E
	s_add_u32 s60, 0x200, s80                                  // 0000000054C4: 803C50FF 00000200
	s_cmp_lt_u32 s60, s81                                      // 0000000054CC: BF0A513C
	s_cselect_b32 s56, s56, 0                                  // 0000000054D0: 85388038
	s_cselect_b32 s78, s78, 0                                  // 0000000054D4: 854E804E
	s_cselect_b32 s79, s79, 0                                  // 0000000054D8: 854F804F
	s_add_u32 s12, s56, s12                                    // 0000000054DC: 800C0C38
	s_addc_u32 s13, 0, s13                                     // 0000000054E0: 820D0D80
	s_add_u32 s16, s79, s16                                    // 0000000054E4: 8010104F
	s_addc_u32 s17, 0, s17                                     // 0000000054E8: 82111180
	v_mul_f32_e32 v184, v22, v184                              // 0000000054EC: 0B717116
	v_mul_f32_e32 v185, v22, v185                              // 0000000054F0: 0B737316
	v_mul_f32_e32 v186, v22, v186                              // 0000000054F4: 0B757516
	v_mul_f32_e32 v187, v22, v187                              // 0000000054F8: 0B777716
	v_mul_f32_dpp v184, v12, v184 row_newbcast:0 row_mask:0xf bank_mask:0xf// 0000000054FC: 0B7170FA FF01500C
	v_mul_f32_dpp v185, v12, v185 row_newbcast:1 row_mask:0xf bank_mask:0xf// 000000005504: 0B7372FA FF01510C
	v_mul_f32_dpp v186, v12, v186 row_newbcast:2 row_mask:0xf bank_mask:0xf// 00000000550C: 0B7574FA FF01520C
	v_mul_f32_dpp v187, v12, v187 row_newbcast:3 row_mask:0xf bank_mask:0xf// 000000005514: 0B7776FA FF01530C
	v_mul_f32_e32 v188, v23, v188                              // 00000000551C: 0B797917
	v_mul_f32_e32 v189, v23, v189                              // 000000005520: 0B7B7B17
	v_mul_f32_e32 v190, v23, v190                              // 000000005524: 0B7D7D17
	v_mul_f32_e32 v191, v23, v191                              // 000000005528: 0B7F7F17
	v_mul_f32_dpp v188, v12, v188 row_newbcast:0 row_mask:0xf bank_mask:0xf// 00000000552C: 0B7978FA FF01500C
	v_mul_f32_dpp v189, v12, v189 row_newbcast:1 row_mask:0xf bank_mask:0xf// 000000005534: 0B7B7AFA FF01510C
	v_mul_f32_dpp v190, v12, v190 row_newbcast:2 row_mask:0xf bank_mask:0xf// 00000000553C: 0B7D7CFA FF01520C
	v_mul_f32_dpp v191, v12, v191 row_newbcast:3 row_mask:0xf bank_mask:0xf// 000000005544: 0B7F7EFA FF01530C
	v_mul_f32_e32 v192, v22, v192                              // 00000000554C: 0B818116
	v_mul_f32_e32 v193, v22, v193                              // 000000005550: 0B838316
	v_mul_f32_e32 v194, v22, v194                              // 000000005554: 0B858516
	v_mul_f32_e32 v195, v22, v195                              // 000000005558: 0B878716
	v_mul_f32_dpp v192, v12, v192 row_newbcast:4 row_mask:0xf bank_mask:0xf// 00000000555C: 0B8180FA FF01540C
	v_mul_f32_dpp v193, v12, v193 row_newbcast:5 row_mask:0xf bank_mask:0xf// 000000005564: 0B8382FA FF01550C
	v_mul_f32_dpp v194, v12, v194 row_newbcast:6 row_mask:0xf bank_mask:0xf// 00000000556C: 0B8584FA FF01560C
	v_mul_f32_dpp v195, v12, v195 row_newbcast:7 row_mask:0xf bank_mask:0xf// 000000005574: 0B8786FA FF01570C
	v_mul_f32_e32 v196, v23, v196                              // 00000000557C: 0B898917
	v_mul_f32_e32 v197, v23, v197                              // 000000005580: 0B8B8B17
	v_mul_f32_e32 v198, v23, v198                              // 000000005584: 0B8D8D17
	v_mul_f32_e32 v199, v23, v199                              // 000000005588: 0B8F8F17
	v_mul_f32_dpp v196, v12, v196 row_newbcast:4 row_mask:0xf bank_mask:0xf// 00000000558C: 0B8988FA FF01540C
	v_mul_f32_dpp v197, v12, v197 row_newbcast:5 row_mask:0xf bank_mask:0xf// 000000005594: 0B8B8AFA FF01550C
	v_mul_f32_dpp v198, v12, v198 row_newbcast:6 row_mask:0xf bank_mask:0xf// 00000000559C: 0B8D8CFA FF01560C
	v_mul_f32_dpp v199, v12, v199 row_newbcast:7 row_mask:0xf bank_mask:0xf// 0000000055A4: 0B8F8EFA FF01570C
	v_mul_f32_e32 v200, v22, v200                              // 0000000055AC: 0B919116
	v_mul_f32_e32 v201, v22, v201                              // 0000000055B0: 0B939316
	v_mul_f32_e32 v202, v22, v202                              // 0000000055B4: 0B959516
	v_mul_f32_e32 v203, v22, v203                              // 0000000055B8: 0B979716
	v_mul_f32_dpp v200, v12, v200 row_newbcast:8 row_mask:0xf bank_mask:0xf// 0000000055BC: 0B9190FA FF01580C
	v_mul_f32_dpp v201, v12, v201 row_newbcast:9 row_mask:0xf bank_mask:0xf// 0000000055C4: 0B9392FA FF01590C
	v_mul_f32_dpp v202, v12, v202 row_newbcast:10 row_mask:0xf bank_mask:0xf// 0000000055CC: 0B9594FA FF015A0C
	v_mul_f32_dpp v203, v12, v203 row_newbcast:11 row_mask:0xf bank_mask:0xf// 0000000055D4: 0B9796FA FF015B0C
	v_mul_f32_e32 v204, v23, v204                              // 0000000055DC: 0B999917
	v_mul_f32_e32 v205, v23, v205                              // 0000000055E0: 0B9B9B17
	v_mul_f32_e32 v206, v23, v206                              // 0000000055E4: 0B9D9D17
	v_mul_f32_e32 v207, v23, v207                              // 0000000055E8: 0B9F9F17
	v_mul_f32_dpp v204, v12, v204 row_newbcast:8 row_mask:0xf bank_mask:0xf// 0000000055EC: 0B9998FA FF01580C
	v_mul_f32_dpp v205, v12, v205 row_newbcast:9 row_mask:0xf bank_mask:0xf// 0000000055F4: 0B9B9AFA FF01590C
	v_mul_f32_dpp v206, v12, v206 row_newbcast:10 row_mask:0xf bank_mask:0xf// 0000000055FC: 0B9D9CFA FF015A0C
	v_mul_f32_dpp v207, v12, v207 row_newbcast:11 row_mask:0xf bank_mask:0xf// 000000005604: 0B9F9EFA FF015B0C
	v_mul_f32_e32 v208, v22, v208                              // 00000000560C: 0BA1A116
	v_mul_f32_e32 v209, v22, v209                              // 000000005610: 0BA3A316
	v_mul_f32_e32 v210, v22, v210                              // 000000005614: 0BA5A516
	v_mul_f32_e32 v211, v22, v211                              // 000000005618: 0BA7A716
	v_mul_f32_dpp v208, v12, v208 row_newbcast:12 row_mask:0xf bank_mask:0xf// 00000000561C: 0BA1A0FA FF015C0C
	v_mul_f32_dpp v209, v12, v209 row_newbcast:13 row_mask:0xf bank_mask:0xf// 000000005624: 0BA3A2FA FF015D0C
	v_mul_f32_dpp v210, v12, v210 row_newbcast:14 row_mask:0xf bank_mask:0xf// 00000000562C: 0BA5A4FA FF015E0C
	v_mul_f32_dpp v211, v12, v211 row_newbcast:15 row_mask:0xf bank_mask:0xf// 000000005634: 0BA7A6FA FF015F0C
	v_mul_f32_e32 v212, v23, v212                              // 00000000563C: 0BA9A917
	v_mul_f32_e32 v213, v23, v213                              // 000000005640: 0BABAB17
	v_mul_f32_e32 v214, v23, v214                              // 000000005644: 0BADAD17
	v_mul_f32_e32 v215, v23, v215                              // 000000005648: 0BAFAF17
	v_mul_f32_dpp v212, v12, v212 row_newbcast:12 row_mask:0xf bank_mask:0xf// 00000000564C: 0BA9A8FA FF015C0C
	v_mul_f32_dpp v213, v12, v213 row_newbcast:13 row_mask:0xf bank_mask:0xf// 000000005654: 0BABAAFA FF015D0C
	v_mul_f32_dpp v214, v12, v214 row_newbcast:14 row_mask:0xf bank_mask:0xf// 00000000565C: 0BADACFA FF015E0C
	v_mul_f32_dpp v215, v12, v215 row_newbcast:15 row_mask:0xf bank_mask:0xf// 000000005664: 0BAFAEFA FF015F0C
	v_cmp_u_f32_e64 s[48:49], v184, v184                       // 00000000566C: D0480030 000371B8
	v_add3_u32 v39, v184, v42, 1                               // 000000005674: D1FF0027 020655B8
	v_cndmask_b32_e64 v44, v39, v41, s[48:49]                  // 00000000567C: D100002C 00C25327
	v_cmp_u_f32_e64 s[48:49], v185, v185                       // 000000005684: D0480030 000373B9
	v_add3_u32 v39, v185, v42, 1                               // 00000000568C: D1FF0027 020655B9
	v_cndmask_b32_e64 v45, v39, v41, s[48:49]                  // 000000005694: D100002D 00C25327
	v_perm_b32 v184, v45, v44, s52                             // 00000000569C: D1ED00B8 00D2592D
	v_cmp_u_f32_e64 s[48:49], v186, v186                       // 0000000056A4: D0480030 000375BA
	v_add3_u32 v39, v186, v42, 1                               // 0000000056AC: D1FF0027 020655BA
	v_cndmask_b32_e64 v44, v39, v41, s[48:49]                  // 0000000056B4: D100002C 00C25327
	v_cmp_u_f32_e64 s[48:49], v187, v187                       // 0000000056BC: D0480030 000377BB
	v_add3_u32 v39, v187, v42, 1                               // 0000000056C4: D1FF0027 020655BB
	v_cndmask_b32_e64 v45, v39, v41, s[48:49]                  // 0000000056CC: D100002D 00C25327
	v_perm_b32 v185, v45, v44, s52                             // 0000000056D4: D1ED00B9 00D2592D
	v_cmp_u_f32_e64 s[48:49], v188, v188                       // 0000000056DC: D0480030 000379BC
	v_add3_u32 v39, v188, v42, 1                               // 0000000056E4: D1FF0027 020655BC
	v_cndmask_b32_e64 v44, v39, v41, s[48:49]                  // 0000000056EC: D100002C 00C25327
	v_cmp_u_f32_e64 s[48:49], v189, v189                       // 0000000056F4: D0480030 00037BBD
	v_add3_u32 v39, v189, v42, 1                               // 0000000056FC: D1FF0027 020655BD
	v_cndmask_b32_e64 v45, v39, v41, s[48:49]                  // 000000005704: D100002D 00C25327
	v_perm_b32 v186, v45, v44, s52                             // 00000000570C: D1ED00BA 00D2592D
	v_cmp_u_f32_e64 s[48:49], v190, v190                       // 000000005714: D0480030 00037DBE
	v_add3_u32 v39, v190, v42, 1                               // 00000000571C: D1FF0027 020655BE
	v_cndmask_b32_e64 v44, v39, v41, s[48:49]                  // 000000005724: D100002C 00C25327
	v_cmp_u_f32_e64 s[48:49], v191, v191                       // 00000000572C: D0480030 00037FBF
	v_add3_u32 v39, v191, v42, 1                               // 000000005734: D1FF0027 020655BF
	v_cndmask_b32_e64 v45, v39, v41, s[48:49]                  // 00000000573C: D100002D 00C25327
	v_perm_b32 v187, v45, v44, s52                             // 000000005744: D1ED00BB 00D2592D
	v_cmp_u_f32_e64 s[48:49], v192, v192                       // 00000000574C: D0480030 000381C0
	v_add3_u32 v39, v192, v42, 1                               // 000000005754: D1FF0027 020655C0
	v_cndmask_b32_e64 v44, v39, v41, s[48:49]                  // 00000000575C: D100002C 00C25327
	v_cmp_u_f32_e64 s[48:49], v193, v193                       // 000000005764: D0480030 000383C1
	v_add3_u32 v39, v193, v42, 1                               // 00000000576C: D1FF0027 020655C1
	v_cndmask_b32_e64 v45, v39, v41, s[48:49]                  // 000000005774: D100002D 00C25327
	v_perm_b32 v188, v45, v44, s52                             // 00000000577C: D1ED00BC 00D2592D
	v_cmp_u_f32_e64 s[48:49], v194, v194                       // 000000005784: D0480030 000385C2
	v_add3_u32 v39, v194, v42, 1                               // 00000000578C: D1FF0027 020655C2
	v_cndmask_b32_e64 v44, v39, v41, s[48:49]                  // 000000005794: D100002C 00C25327
	v_cmp_u_f32_e64 s[48:49], v195, v195                       // 00000000579C: D0480030 000387C3
	v_add3_u32 v39, v195, v42, 1                               // 0000000057A4: D1FF0027 020655C3
	v_cndmask_b32_e64 v45, v39, v41, s[48:49]                  // 0000000057AC: D100002D 00C25327
	v_perm_b32 v189, v45, v44, s52                             // 0000000057B4: D1ED00BD 00D2592D
	v_cmp_u_f32_e64 s[48:49], v196, v196                       // 0000000057BC: D0480030 000389C4
	v_add3_u32 v39, v196, v42, 1                               // 0000000057C4: D1FF0027 020655C4
	v_cndmask_b32_e64 v44, v39, v41, s[48:49]                  // 0000000057CC: D100002C 00C25327
	v_cmp_u_f32_e64 s[48:49], v197, v197                       // 0000000057D4: D0480030 00038BC5
	v_add3_u32 v39, v197, v42, 1                               // 0000000057DC: D1FF0027 020655C5
	v_cndmask_b32_e64 v45, v39, v41, s[48:49]                  // 0000000057E4: D100002D 00C25327
	v_perm_b32 v190, v45, v44, s52                             // 0000000057EC: D1ED00BE 00D2592D
	v_cmp_u_f32_e64 s[48:49], v198, v198                       // 0000000057F4: D0480030 00038DC6
	v_add3_u32 v39, v198, v42, 1                               // 0000000057FC: D1FF0027 020655C6
	v_cndmask_b32_e64 v44, v39, v41, s[48:49]                  // 000000005804: D100002C 00C25327
	v_cmp_u_f32_e64 s[48:49], v199, v199                       // 00000000580C: D0480030 00038FC7
	v_add3_u32 v39, v199, v42, 1                               // 000000005814: D1FF0027 020655C7
	v_cndmask_b32_e64 v45, v39, v41, s[48:49]                  // 00000000581C: D100002D 00C25327
	v_perm_b32 v191, v45, v44, s52                             // 000000005824: D1ED00BF 00D2592D
	v_cmp_u_f32_e64 s[48:49], v200, v200                       // 00000000582C: D0480030 000391C8
	v_add3_u32 v39, v200, v42, 1                               // 000000005834: D1FF0027 020655C8
	v_cndmask_b32_e64 v44, v39, v41, s[48:49]                  // 00000000583C: D100002C 00C25327
	v_cmp_u_f32_e64 s[48:49], v201, v201                       // 000000005844: D0480030 000393C9
	v_add3_u32 v39, v201, v42, 1                               // 00000000584C: D1FF0027 020655C9
	v_cndmask_b32_e64 v45, v39, v41, s[48:49]                  // 000000005854: D100002D 00C25327
	v_perm_b32 v192, v45, v44, s52                             // 00000000585C: D1ED00C0 00D2592D
	v_cmp_u_f32_e64 s[48:49], v202, v202                       // 000000005864: D0480030 000395CA
	v_add3_u32 v39, v202, v42, 1                               // 00000000586C: D1FF0027 020655CA
	v_cndmask_b32_e64 v44, v39, v41, s[48:49]                  // 000000005874: D100002C 00C25327
	v_cmp_u_f32_e64 s[48:49], v203, v203                       // 00000000587C: D0480030 000397CB
	v_add3_u32 v39, v203, v42, 1                               // 000000005884: D1FF0027 020655CB
	v_cndmask_b32_e64 v45, v39, v41, s[48:49]                  // 00000000588C: D100002D 00C25327
	v_perm_b32 v193, v45, v44, s52                             // 000000005894: D1ED00C1 00D2592D
	v_cmp_u_f32_e64 s[48:49], v204, v204                       // 00000000589C: D0480030 000399CC
	v_add3_u32 v39, v204, v42, 1                               // 0000000058A4: D1FF0027 020655CC
	v_cndmask_b32_e64 v44, v39, v41, s[48:49]                  // 0000000058AC: D100002C 00C25327
	v_cmp_u_f32_e64 s[48:49], v205, v205                       // 0000000058B4: D0480030 00039BCD
	v_add3_u32 v39, v205, v42, 1                               // 0000000058BC: D1FF0027 020655CD
	v_cndmask_b32_e64 v45, v39, v41, s[48:49]                  // 0000000058C4: D100002D 00C25327
	v_perm_b32 v194, v45, v44, s52                             // 0000000058CC: D1ED00C2 00D2592D
	v_cmp_u_f32_e64 s[48:49], v206, v206                       // 0000000058D4: D0480030 00039DCE
	v_add3_u32 v39, v206, v42, 1                               // 0000000058DC: D1FF0027 020655CE
	v_cndmask_b32_e64 v44, v39, v41, s[48:49]                  // 0000000058E4: D100002C 00C25327
	v_cmp_u_f32_e64 s[48:49], v207, v207                       // 0000000058EC: D0480030 00039FCF
	v_add3_u32 v39, v207, v42, 1                               // 0000000058F4: D1FF0027 020655CF
	v_cndmask_b32_e64 v45, v39, v41, s[48:49]                  // 0000000058FC: D100002D 00C25327
	v_perm_b32 v195, v45, v44, s52                             // 000000005904: D1ED00C3 00D2592D
	v_cmp_u_f32_e64 s[48:49], v208, v208                       // 00000000590C: D0480030 0003A1D0
	v_add3_u32 v39, v208, v42, 1                               // 000000005914: D1FF0027 020655D0
	v_cndmask_b32_e64 v44, v39, v41, s[48:49]                  // 00000000591C: D100002C 00C25327
	v_cmp_u_f32_e64 s[48:49], v209, v209                       // 000000005924: D0480030 0003A3D1
	v_add3_u32 v39, v209, v42, 1                               // 00000000592C: D1FF0027 020655D1
	v_cndmask_b32_e64 v45, v39, v41, s[48:49]                  // 000000005934: D100002D 00C25327
	v_perm_b32 v196, v45, v44, s52                             // 00000000593C: D1ED00C4 00D2592D
	v_cmp_u_f32_e64 s[48:49], v210, v210                       // 000000005944: D0480030 0003A5D2
	v_add3_u32 v39, v210, v42, 1                               // 00000000594C: D1FF0027 020655D2
	v_cndmask_b32_e64 v44, v39, v41, s[48:49]                  // 000000005954: D100002C 00C25327
	v_cmp_u_f32_e64 s[48:49], v211, v211                       // 00000000595C: D0480030 0003A7D3
	v_add3_u32 v39, v211, v42, 1                               // 000000005964: D1FF0027 020655D3
	v_cndmask_b32_e64 v45, v39, v41, s[48:49]                  // 00000000596C: D100002D 00C25327
	v_perm_b32 v197, v45, v44, s52                             // 000000005974: D1ED00C5 00D2592D
	v_cmp_u_f32_e64 s[48:49], v212, v212                       // 00000000597C: D0480030 0003A9D4
	v_add3_u32 v39, v212, v42, 1                               // 000000005984: D1FF0027 020655D4
	v_cndmask_b32_e64 v44, v39, v41, s[48:49]                  // 00000000598C: D100002C 00C25327
	v_cmp_u_f32_e64 s[48:49], v213, v213                       // 000000005994: D0480030 0003ABD5
	v_add3_u32 v39, v213, v42, 1                               // 00000000599C: D1FF0027 020655D5
	v_cndmask_b32_e64 v45, v39, v41, s[48:49]                  // 0000000059A4: D100002D 00C25327
	v_perm_b32 v198, v45, v44, s52                             // 0000000059AC: D1ED00C6 00D2592D
	v_cmp_u_f32_e64 s[48:49], v214, v214                       // 0000000059B4: D0480030 0003ADD6
	v_add3_u32 v39, v214, v42, 1                               // 0000000059BC: D1FF0027 020655D6
	v_cndmask_b32_e64 v44, v39, v41, s[48:49]                  // 0000000059C4: D100002C 00C25327
	v_cmp_u_f32_e64 s[48:49], v215, v215                       // 0000000059CC: D0480030 0003AFD7
	v_add3_u32 v39, v215, v42, 1                               // 0000000059D4: D1FF0027 020655D7
	v_cndmask_b32_e64 v45, v39, v41, s[48:49]                  // 0000000059DC: D100002D 00C25327
	v_perm_b32 v199, v45, v44, s52                             // 0000000059E4: D1ED00C7 00D2592D
	ds_write_b64 v3, v[184:185] offset:24832                   // 0000000059EC: D89A6100 0000B803
	ds_write_b64 v3, v[186:187] offset:33536                   // 0000000059F4: D89A8300 0000BA03
	ds_write_b64 v3, v[188:189] offset:27008                   // 0000000059FC: D89A6980 0000BC03
	ds_write_b64 v3, v[190:191] offset:35712                   // 000000005A04: D89A8B80 0000BE03
	ds_write_b64 v3, v[192:193] offset:29184                   // 000000005A0C: D89A7200 0000C003
	ds_write_b64 v3, v[194:195] offset:37888                   // 000000005A14: D89A9400 0000C203
	ds_write_b64 v3, v[196:197] offset:31360                   // 000000005A1C: D89A7A80 0000C403
	ds_write_b64 v3, v[198:199] offset:40064                   // 000000005A24: D89A9C80 0000C603
	s_waitcnt lgkmcnt(0)                                       // 000000005A2C: BF8CC07F
	s_barrier                                                  // 000000005A30: BF8A0000
	ds_read_b32 v64, v4 offset:24832                           // 000000005A34: D86C6100 40000004
	ds_read_b32 v65, v4 offset:29184                           // 000000005A3C: D86C7200 41000004
	ds_read_b32 v66, v4 offset:24864                           // 000000005A44: D86C6120 42000004
	ds_read_b32 v67, v4 offset:29216                           // 000000005A4C: D86C7220 43000004
	ds_read_b32 v68, v4 offset:24896                           // 000000005A54: D86C6140 44000004
	ds_read_b32 v69, v4 offset:29248                           // 000000005A5C: D86C7240 45000004
	ds_read_b32 v70, v4 offset:24928                           // 000000005A64: D86C6160 46000004
	ds_read_b32 v71, v4 offset:29280                           // 000000005A6C: D86C7260 47000004
	ds_read_b32 v72, v4 offset:33536                           // 000000005A74: D86C8300 48000004
	ds_read_b32 v73, v4 offset:37888                           // 000000005A7C: D86C9400 49000004
	ds_read_b32 v74, v4 offset:33568                           // 000000005A84: D86C8320 4A000004
	ds_read_b32 v75, v4 offset:37920                           // 000000005A8C: D86C9420 4B000004
	ds_read_b32 v76, v4 offset:33600                           // 000000005A94: D86C8340 4C000004
	ds_read_b32 v77, v4 offset:37952                           // 000000005A9C: D86C9440 4D000004
	ds_read_b32 v78, v4 offset:33632                           // 000000005AA4: D86C8360 4E000004
	ds_read_b32 v79, v4 offset:37984                           // 000000005AAC: D86C9460 4F000004
	s_waitcnt lgkmcnt(0)                                       // 000000005AB4: BF8CC07F
	s_mov_b64 exec, s[20:21]                                   // 000000005AB8: BEFE0114
	global_atomic_pk_add_bf16 v80, v64, s[8:9]                 // 000000005ABC: DD488000 00084050
	s_mov_b64 exec, s[36:37]                                   // 000000005AC4: BEFE0124
	s_mov_b64 exec, s[20:21]                                   // 000000005AC8: BEFE0114
	global_atomic_pk_add_bf16 v80, v65, s[8:9] offset:256      // 000000005ACC: DD488100 00084150
	s_mov_b64 exec, s[36:37]                                   // 000000005AD4: BEFE0124
	s_mov_b64 exec, s[22:23]                                   // 000000005AD8: BEFE0116
	global_atomic_pk_add_bf16 v82, v66, s[8:9]                 // 000000005ADC: DD488000 00084252
	s_mov_b64 exec, s[36:37]                                   // 000000005AE4: BEFE0124
	s_mov_b64 exec, s[22:23]                                   // 000000005AE8: BEFE0116
	global_atomic_pk_add_bf16 v82, v67, s[8:9] offset:256      // 000000005AEC: DD488100 00084352
	s_mov_b64 exec, s[36:37]                                   // 000000005AF4: BEFE0124
	s_mov_b64 exec, s[24:25]                                   // 000000005AF8: BEFE0118
	global_atomic_pk_add_bf16 v84, v68, s[8:9]                 // 000000005AFC: DD488000 00084454
	s_mov_b64 exec, s[36:37]                                   // 000000005B04: BEFE0124
	s_mov_b64 exec, s[24:25]                                   // 000000005B08: BEFE0118
	global_atomic_pk_add_bf16 v84, v69, s[8:9] offset:256      // 000000005B0C: DD488100 00084554
	s_mov_b64 exec, s[36:37]                                   // 000000005B14: BEFE0124
	s_mov_b64 exec, s[26:27]                                   // 000000005B18: BEFE011A
	global_atomic_pk_add_bf16 v86, v70, s[8:9]                 // 000000005B1C: DD488000 00084656
	s_mov_b64 exec, s[36:37]                                   // 000000005B24: BEFE0124
	s_mov_b64 exec, s[26:27]                                   // 000000005B28: BEFE011A
	global_atomic_pk_add_bf16 v86, v71, s[8:9] offset:256      // 000000005B2C: DD488100 00084756
	s_mov_b64 exec, s[36:37]                                   // 000000005B34: BEFE0124
	s_mov_b64 exec, s[28:29]                                   // 000000005B38: BEFE011C
	global_atomic_pk_add_bf16 v88, v72, s[8:9]                 // 000000005B3C: DD488000 00084858
	s_mov_b64 exec, s[36:37]                                   // 000000005B44: BEFE0124
	s_mov_b64 exec, s[28:29]                                   // 000000005B48: BEFE011C
	global_atomic_pk_add_bf16 v88, v73, s[8:9] offset:256      // 000000005B4C: DD488100 00084958
	s_mov_b64 exec, s[36:37]                                   // 000000005B54: BEFE0124
	s_mov_b64 exec, s[30:31]                                   // 000000005B58: BEFE011E
	global_atomic_pk_add_bf16 v90, v74, s[8:9]                 // 000000005B5C: DD488000 00084A5A
	s_mov_b64 exec, s[36:37]                                   // 000000005B64: BEFE0124
	s_mov_b64 exec, s[30:31]                                   // 000000005B68: BEFE011E
	global_atomic_pk_add_bf16 v90, v75, s[8:9] offset:256      // 000000005B6C: DD488100 00084B5A
	s_mov_b64 exec, s[36:37]                                   // 000000005B74: BEFE0124
	s_mov_b64 exec, s[32:33]                                   // 000000005B78: BEFE0120
	global_atomic_pk_add_bf16 v92, v76, s[8:9]                 // 000000005B7C: DD488000 00084C5C
	s_mov_b64 exec, s[36:37]                                   // 000000005B84: BEFE0124
	s_mov_b64 exec, s[32:33]                                   // 000000005B88: BEFE0120
	global_atomic_pk_add_bf16 v92, v77, s[8:9] offset:256      // 000000005B8C: DD488100 00084D5C
	s_mov_b64 exec, s[36:37]                                   // 000000005B94: BEFE0124
	s_mov_b64 exec, s[34:35]                                   // 000000005B98: BEFE0122
	global_atomic_pk_add_bf16 v94, v78, s[8:9]                 // 000000005B9C: DD488000 00084E5E
	s_mov_b64 exec, s[36:37]                                   // 000000005BA4: BEFE0124
	s_mov_b64 exec, s[34:35]                                   // 000000005BA8: BEFE0122
	global_atomic_pk_add_bf16 v94, v79, s[8:9] offset:256      // 000000005BAC: DD488100 00084F5E
	s_mov_b64 exec, s[36:37]                                   // 000000005BB4: BEFE0124
	s_add_u32 s8, s59, s8                                      // 000000005BB8: 8008083B
	s_addc_u32 s9, 0, s9                                       // 000000005BBC: 82090980
	s_addk_i32 s80, 0x100                                      // 000000005BC0: B7500100
	s_cmp_lt_i32 s80, s81                                      // 000000005BC4: BF045150
	s_cbranch_scc0 label_0C34                                  // 000000005BC8: BF840001
	s_branch label_07AB                                        // 000000005BCC: BF82FB77

0000000000005bd0 <label_0C34>:
	s_nop 0                                                    // 000000005BD0: BF800000
	s_nop 0                                                    // 000000005BD4: BF800000
	s_branch label_1640                                        // 000000005BD8: BF820A09

0000000000005bdc <label_0C37>:
	s_waitcnt vmcnt(4) lgkmcnt(0)                              // 000000005BDC: BF8C0074
	s_barrier                                                  // 000000005BE0: BF8A0000
	v_mfma_f32_16x16x32_fp8_fp8 v[128:131], a[0:1], v[152:153], v[128:131]// 000000005BE4: D3F30080 0E033100
	buffer_load_dwordx4 a[48:51], v32, s[92:95], 0 offen       // 000000005BEC: E05C1000 80973020
	v_mfma_f32_16x16x32_fp8_fp8 v[128:131], a[2:3], v[154:155], v[128:131]// 000000005BF4: D3F30080 0E033502
	v_mfma_f32_16x16x32_fp8_fp8 v[128:131], a[4:5], v[156:157], v[128:131]// 000000005BFC: D3F30080 0E033904
	buffer_load_dword v24, s[20:23], 0 offen lds               // 000000005C04: E0511000 80050018
	s_add_u32 m0, 0x100, s51                                   // 000000005C0C: 807C33FF 00000100
	v_mfma_f32_16x16x32_fp8_fp8 v[128:131], a[6:7], v[158:159], v[128:131]// 000000005C14: D3F30080 0E033D06
	v_mfma_f32_16x16x32_fp8_fp8 v[128:131], a[8:9], v[160:161], v[128:131]// 000000005C1C: D3F30080 0E034108
	buffer_load_dwordx4 a[52:55], v32, s[92:95], 0 offen offset:1024// 000000005C24: E05C1400 80973420
	v_mfma_f32_16x16x32_fp8_fp8 v[128:131], a[10:11], v[162:163], v[128:131]// 000000005C2C: D3F30080 0E03450A
	v_mfma_f32_16x16x32_fp8_fp8 v[128:131], a[12:13], v[164:165], v[128:131]// 000000005C34: D3F30080 0E03490C
	buffer_load_dword v25, s[20:23], 0 offen lds               // 000000005C3C: E0511000 80050019
	s_add_u32 m0, 0x200, s51                                   // 000000005C44: 807C33FF 00000200
	v_mfma_f32_16x16x32_fp8_fp8 v[128:131], a[14:15], v[166:167], v[128:131]// 000000005C4C: D3F30080 0E034D0E
	v_mfma_f32_16x16x32_fp8_fp8 v[132:135], a[0:1], v[168:169], v[132:135]// 000000005C54: D3F30084 0E135100
	buffer_load_dwordx4 a[56:59], v32, s[92:95], 0 offen offset:2048// 000000005C5C: E05C1800 80973820
	v_mfma_f32_16x16x32_fp8_fp8 v[132:135], a[2:3], v[170:171], v[132:135]// 000000005C64: D3F30084 0E135502
	v_mfma_f32_16x16x32_fp8_fp8 v[132:135], a[4:5], v[172:173], v[132:135]// 000000005C6C: D3F30084 0E135904
	buffer_load_dword v26, s[20:23], 0 offen lds               // 000000005C74: E0511000 8005001A
	s_add_u32 m0, 0x300, s51                                   // 000000005C7C: 807C33FF 00000300
	v_mfma_f32_16x16x32_fp8_fp8 v[132:135], a[6:7], v[174:175], v[132:135]// 000000005C84: D3F30084 0E135D06
	v_mfma_f32_16x16x32_fp8_fp8 v[132:135], a[8:9], v[176:177], v[132:135]// 000000005C8C: D3F30084 0E136108
	buffer_load_dwordx4 a[60:63], v32, s[92:95], 0 offen offset:3072// 000000005C94: E05C1C00 80973C20
	v_mfma_f32_16x16x32_fp8_fp8 v[132:135], a[10:11], v[178:179], v[132:135]// 000000005C9C: D3F30084 0E13650A
	v_mfma_f32_16x16x32_fp8_fp8 v[132:135], a[12:13], v[180:181], v[132:135]// 000000005CA4: D3F30084 0E13690C
	buffer_load_dword v27, s[20:23], 0 offen lds               // 000000005CAC: E0511000 8005001B
	s_add_u32 m0, 0x400, s51                                   // 000000005CB4: 807C33FF 00000400
	v_mfma_f32_16x16x32_fp8_fp8 v[132:135], a[14:15], v[182:183], v[132:135]// 000000005CBC: D3F30084 0E136D0E
	v_mfma_f32_16x16x32_fp8_fp8 v[136:139], a[16:17], v[152:153], v[136:139]// 000000005CC4: D3F30088 0E233110
	buffer_load_dwordx4 a[64:67], v33, s[92:95], 0 offen       // 000000005CCC: E05C1000 80974021
	v_mfma_f32_16x16x32_fp8_fp8 v[136:139], a[18:19], v[154:155], v[136:139]// 000000005CD4: D3F30088 0E233512
	v_mfma_f32_16x16x32_fp8_fp8 v[136:139], a[20:21], v[156:157], v[136:139]// 000000005CDC: D3F30088 0E233914
	buffer_load_dword v28, s[20:23], 0 offen lds               // 000000005CE4: E0511000 8005001C
	s_add_u32 m0, 0x500, s51                                   // 000000005CEC: 807C33FF 00000500
	v_mfma_f32_16x16x32_fp8_fp8 v[136:139], a[22:23], v[158:159], v[136:139]// 000000005CF4: D3F30088 0E233D16
	v_mfma_f32_16x16x32_fp8_fp8 v[136:139], a[24:25], v[160:161], v[136:139]// 000000005CFC: D3F30088 0E234118
	buffer_load_dwordx4 a[68:71], v33, s[92:95], 0 offen offset:1024// 000000005D04: E05C1400 80974421
	v_mfma_f32_16x16x32_fp8_fp8 v[136:139], a[26:27], v[162:163], v[136:139]// 000000005D0C: D3F30088 0E23451A
	v_mfma_f32_16x16x32_fp8_fp8 v[136:139], a[28:29], v[164:165], v[136:139]// 000000005D14: D3F30088 0E23491C
	buffer_load_dword v29, s[20:23], 0 offen lds               // 000000005D1C: E0511000 8005001D
	s_add_u32 m0, 0x600, s51                                   // 000000005D24: 807C33FF 00000600
	v_mfma_f32_16x16x32_fp8_fp8 v[136:139], a[30:31], v[166:167], v[136:139]// 000000005D2C: D3F30088 0E234D1E
	v_mfma_f32_16x16x32_fp8_fp8 v[140:143], a[16:17], v[168:169], v[140:143]// 000000005D34: D3F3008C 0E335110
	buffer_load_dwordx4 a[72:75], v33, s[92:95], 0 offen offset:2048// 000000005D3C: E05C1800 80974821
	v_mfma_f32_16x16x32_fp8_fp8 v[140:143], a[18:19], v[170:171], v[140:143]// 000000005D44: D3F3008C 0E335512
	v_mfma_f32_16x16x32_fp8_fp8 v[140:143], a[20:21], v[172:173], v[140:143]// 000000005D4C: D3F3008C 0E335914
	buffer_load_dword v30, s[20:23], 0 offen lds               // 000000005D54: E0511000 8005001E
	s_add_u32 m0, 0x700, s51                                   // 000000005D5C: 807C33FF 00000700
	v_mfma_f32_16x16x32_fp8_fp8 v[140:143], a[22:23], v[174:175], v[140:143]// 000000005D64: D3F3008C 0E335D16
	v_mfma_f32_16x16x32_fp8_fp8 v[140:143], a[24:25], v[176:177], v[140:143]// 000000005D6C: D3F3008C 0E336118
	buffer_load_dwordx4 a[76:79], v33, s[92:95], 0 offen offset:3072// 000000005D74: E05C1C00 80974C21
	v_mfma_f32_16x16x32_fp8_fp8 v[140:143], a[26:27], v[178:179], v[140:143]// 000000005D7C: D3F3008C 0E33651A
	v_mfma_f32_16x16x32_fp8_fp8 v[140:143], a[28:29], v[180:181], v[140:143]// 000000005D84: D3F3008C 0E33691C
	buffer_load_dword v31, s[20:23], 0 offen lds               // 000000005D8C: E0511000 8005001F
	s_add_u32 m0, 0, s50                                       // 000000005D94: 807C3280
	v_mfma_f32_16x16x32_fp8_fp8 v[140:143], a[30:31], v[182:183], v[140:143]// 000000005D98: D3F3008C 0E336D1E
	s_waitcnt vmcnt(16)                                        // 000000005DA0: BF8C4F70
	v_mfma_f32_16x16x32_fp8_fp8 v[144:147], a[32:33], v[152:153], v[144:147]// 000000005DA4: D3F30090 0E433120
	buffer_load_dwordx4 a[80:83], v34, s[92:95], 0 offen       // 000000005DAC: E05C1000 80975022
	v_mfma_f32_16x16x32_fp8_fp8 v[144:147], a[34:35], v[154:155], v[144:147]// 000000005DB4: D3F30090 0E433522
	v_mfma_f32_16x16x32_fp8_fp8 v[144:147], a[36:37], v[156:157], v[144:147]// 000000005DBC: D3F30090 0E433924
	v_mfma_f32_16x16x32_fp8_fp8 v[144:147], a[38:39], v[158:159], v[144:147]// 000000005DC4: D3F30090 0E433D26
	v_mfma_f32_16x16x32_fp8_fp8 v[144:147], a[40:41], v[160:161], v[144:147]// 000000005DCC: D3F30090 0E434128
	buffer_load_dwordx4 a[84:87], v34, s[92:95], 0 offen offset:1024// 000000005DD4: E05C1400 80975422
	v_mfma_f32_16x16x32_fp8_fp8 v[144:147], a[42:43], v[162:163], v[144:147]// 000000005DDC: D3F30090 0E43452A
	v_mfma_f32_16x16x32_fp8_fp8 v[144:147], a[44:45], v[164:165], v[144:147]// 000000005DE4: D3F30090 0E43492C
	v_mfma_f32_16x16x32_fp8_fp8 v[144:147], a[46:47], v[166:167], v[144:147]// 000000005DEC: D3F30090 0E434D2E
	v_mfma_f32_16x16x32_fp8_fp8 v[148:151], a[32:33], v[168:169], v[148:151]// 000000005DF4: D3F30094 0E535120
	buffer_load_dwordx4 a[88:91], v34, s[92:95], 0 offen offset:2048// 000000005DFC: E05C1800 80975822
	v_mfma_f32_16x16x32_fp8_fp8 v[148:151], a[34:35], v[170:171], v[148:151]// 000000005E04: D3F30094 0E535522
	v_mfma_f32_16x16x32_fp8_fp8 v[148:151], a[36:37], v[172:173], v[148:151]// 000000005E0C: D3F30094 0E535924
	v_mfma_f32_16x16x32_fp8_fp8 v[148:151], a[38:39], v[174:175], v[148:151]// 000000005E14: D3F30094 0E535D26
	v_mfma_f32_16x16x32_fp8_fp8 v[148:151], a[40:41], v[176:177], v[148:151]// 000000005E1C: D3F30094 0E536128
	buffer_load_dwordx4 a[92:95], v34, s[92:95], 0 offen offset:3072// 000000005E24: E05C1C00 80975C22
	v_mfma_f32_16x16x32_fp8_fp8 v[148:151], a[42:43], v[178:179], v[148:151]// 000000005E2C: D3F30094 0E53652A
	v_mfma_f32_16x16x32_fp8_fp8 v[148:151], a[44:45], v[180:181], v[148:151]// 000000005E34: D3F30094 0E53692C
	v_mfma_f32_16x16x32_fp8_fp8 v[148:151], a[46:47], v[182:183], v[148:151]// 000000005E3C: D3F30094 0E536D2E
	s_waitcnt vmcnt(4)                                         // 000000005E44: BF8C0F74
	s_barrier                                                  // 000000005E48: BF8A0000
	v_mfma_f32_16x16x32_fp8_fp8 v[64:67], a[48:49], v[152:153], v[64:67]// 000000005E4C: D3F30040 0D033130
	buffer_load_dwordx4 a[0:3], v32, s[24:27], 0 offen         // 000000005E54: E05C1000 80860020
	v_mfma_f32_16x16x32_fp8_fp8 v[64:67], a[50:51], v[154:155], v[64:67]// 000000005E5C: D3F30040 0D033532
	v_mfma_f32_16x16x32_fp8_fp8 v[64:67], a[52:53], v[156:157], v[64:67]// 000000005E64: D3F30040 0D033934
	v_mfma_f32_16x16x32_fp8_fp8 v[64:67], a[54:55], v[158:159], v[64:67]// 000000005E6C: D3F30040 0D033D36
	v_mfma_f32_16x16x32_fp8_fp8 v[64:67], a[56:57], v[160:161], v[64:67]// 000000005E74: D3F30040 0D034138
	buffer_load_dwordx4 a[4:7], v32, s[24:27], 0 offen offset:1024// 000000005E7C: E05C1400 80860420
	v_mfma_f32_16x16x32_fp8_fp8 v[64:67], a[58:59], v[162:163], v[64:67]// 000000005E84: D3F30040 0D03453A
	v_mfma_f32_16x16x32_fp8_fp8 v[64:67], a[60:61], v[164:165], v[64:67]// 000000005E8C: D3F30040 0D03493C
	v_mfma_f32_16x16x32_fp8_fp8 v[64:67], a[62:63], v[166:167], v[64:67]// 000000005E94: D3F30040 0D034D3E
	v_mfma_f32_16x16x32_fp8_fp8 v[68:71], a[48:49], v[168:169], v[68:71]// 000000005E9C: D3F30044 0D135130
	buffer_load_dwordx4 a[8:11], v32, s[24:27], 0 offen offset:2048// 000000005EA4: E05C1800 80860820
	v_mfma_f32_16x16x32_fp8_fp8 v[68:71], a[50:51], v[170:171], v[68:71]// 000000005EAC: D3F30044 0D135532
	v_mfma_f32_16x16x32_fp8_fp8 v[68:71], a[52:53], v[172:173], v[68:71]// 000000005EB4: D3F30044 0D135934
	v_mfma_f32_16x16x32_fp8_fp8 v[68:71], a[54:55], v[174:175], v[68:71]// 000000005EBC: D3F30044 0D135D36
	v_mfma_f32_16x16x32_fp8_fp8 v[68:71], a[56:57], v[176:177], v[68:71]// 000000005EC4: D3F30044 0D136138
	buffer_load_dwordx4 a[12:15], v32, s[24:27], 0 offen offset:3072// 000000005ECC: E05C1C00 80860C20
	v_mfma_f32_16x16x32_fp8_fp8 v[68:71], a[58:59], v[178:179], v[68:71]// 000000005ED4: D3F30044 0D13653A
	v_mfma_f32_16x16x32_fp8_fp8 v[68:71], a[60:61], v[180:181], v[68:71]// 000000005EDC: D3F30044 0D13693C
	v_mfma_f32_16x16x32_fp8_fp8 v[68:71], a[62:63], v[182:183], v[68:71]// 000000005EE4: D3F30044 0D136D3E
	v_mfma_f32_16x16x32_fp8_fp8 v[72:75], a[64:65], v[152:153], v[72:75]// 000000005EEC: D3F30048 0D233140
	buffer_load_dwordx4 a[16:19], v33, s[24:27], 0 offen       // 000000005EF4: E05C1000 80861021
	v_mfma_f32_16x16x32_fp8_fp8 v[72:75], a[66:67], v[154:155], v[72:75]// 000000005EFC: D3F30048 0D233542
	v_mfma_f32_16x16x32_fp8_fp8 v[72:75], a[68:69], v[156:157], v[72:75]// 000000005F04: D3F30048 0D233944
	ds_read_b128 v[184:187], v2 offset:8320                    // 000000005F0C: D9FE2080 B8000002
	v_mfma_f32_16x16x32_fp8_fp8 v[72:75], a[70:71], v[158:159], v[72:75]// 000000005F14: D3F30048 0D233D46
	v_mfma_f32_16x16x32_fp8_fp8 v[72:75], a[72:73], v[160:161], v[72:75]// 000000005F1C: D3F30048 0D234148
	buffer_load_dwordx4 a[20:23], v33, s[24:27], 0 offen offset:1024// 000000005F24: E05C1400 80861421
	v_mfma_f32_16x16x32_fp8_fp8 v[72:75], a[74:75], v[162:163], v[72:75]// 000000005F2C: D3F30048 0D23454A
	v_mfma_f32_16x16x32_fp8_fp8 v[72:75], a[76:77], v[164:165], v[72:75]// 000000005F34: D3F30048 0D23494C
	ds_read_b128 v[188:191], v2 offset:8384                    // 000000005F3C: D9FE20C0 BC000002
	v_mfma_f32_16x16x32_fp8_fp8 v[72:75], a[78:79], v[166:167], v[72:75]// 000000005F44: D3F30048 0D234D4E
	v_mfma_f32_16x16x32_fp8_fp8 v[76:79], a[64:65], v[168:169], v[76:79]// 000000005F4C: D3F3004C 0D335140
	buffer_load_dwordx4 a[24:27], v33, s[24:27], 0 offen offset:2048// 000000005F54: E05C1800 80861821
	v_mfma_f32_16x16x32_fp8_fp8 v[76:79], a[66:67], v[170:171], v[76:79]// 000000005F5C: D3F3004C 0D335542
	v_mfma_f32_16x16x32_fp8_fp8 v[76:79], a[68:69], v[172:173], v[76:79]// 000000005F64: D3F3004C 0D335944
	ds_read_b128 v[192:195], v2 offset:8448                    // 000000005F6C: D9FE2100 C0000002
	v_mfma_f32_16x16x32_fp8_fp8 v[76:79], a[70:71], v[174:175], v[76:79]// 000000005F74: D3F3004C 0D335D46
	v_mfma_f32_16x16x32_fp8_fp8 v[76:79], a[72:73], v[176:177], v[76:79]// 000000005F7C: D3F3004C 0D336148
	buffer_load_dwordx4 a[28:31], v33, s[24:27], 0 offen offset:3072// 000000005F84: E05C1C00 80861C21
	v_mfma_f32_16x16x32_fp8_fp8 v[76:79], a[74:75], v[178:179], v[76:79]// 000000005F8C: D3F3004C 0D33654A
	v_mfma_f32_16x16x32_fp8_fp8 v[76:79], a[76:77], v[180:181], v[76:79]// 000000005F94: D3F3004C 0D33694C
	ds_read_b128 v[196:199], v2 offset:8512                    // 000000005F9C: D9FE2140 C4000002
	v_mfma_f32_16x16x32_fp8_fp8 v[76:79], a[78:79], v[182:183], v[76:79]// 000000005FA4: D3F3004C 0D336D4E
	s_waitcnt vmcnt(8)                                         // 000000005FAC: BF8C0F78
	v_mfma_f32_16x16x32_fp8_fp8 v[80:83], a[80:81], v[152:153], v[80:83]// 000000005FB0: D3F30050 0D433150
	buffer_load_dwordx4 a[32:35], v34, s[24:27], 0 offen       // 000000005FB8: E05C1000 80862022
	v_mfma_f32_16x16x32_fp8_fp8 v[80:83], a[82:83], v[154:155], v[80:83]// 000000005FC0: D3F30050 0D433552
	v_mfma_f32_16x16x32_fp8_fp8 v[80:83], a[84:85], v[156:157], v[80:83]// 000000005FC8: D3F30050 0D433954
	ds_read_b128 v[200:203], v2 offset:9344                    // 000000005FD0: D9FE2480 C8000002
	v_mfma_f32_16x16x32_fp8_fp8 v[80:83], a[86:87], v[158:159], v[80:83]// 000000005FD8: D3F30050 0D433D56
	v_mfma_f32_16x16x32_fp8_fp8 v[80:83], a[88:89], v[160:161], v[80:83]// 000000005FE0: D3F30050 0D434158
	buffer_load_dwordx4 a[36:39], v34, s[24:27], 0 offen offset:1024// 000000005FE8: E05C1400 80862422
	v_mfma_f32_16x16x32_fp8_fp8 v[80:83], a[90:91], v[162:163], v[80:83]// 000000005FF0: D3F30050 0D43455A
	v_mfma_f32_16x16x32_fp8_fp8 v[80:83], a[92:93], v[164:165], v[80:83]// 000000005FF8: D3F30050 0D43495C
	ds_read_b128 v[204:207], v2 offset:9408                    // 000000006000: D9FE24C0 CC000002
	v_mfma_f32_16x16x32_fp8_fp8 v[80:83], a[94:95], v[166:167], v[80:83]// 000000006008: D3F30050 0D434D5E
	v_mfma_f32_16x16x32_fp8_fp8 v[84:87], a[80:81], v[168:169], v[84:87]// 000000006010: D3F30054 0D535150
	buffer_load_dwordx4 a[40:43], v34, s[24:27], 0 offen offset:2048// 000000006018: E05C1800 80862822
	v_mfma_f32_16x16x32_fp8_fp8 v[84:87], a[82:83], v[170:171], v[84:87]// 000000006020: D3F30054 0D535552
	v_mfma_f32_16x16x32_fp8_fp8 v[84:87], a[84:85], v[172:173], v[84:87]// 000000006028: D3F30054 0D535954
	ds_read_b128 v[208:211], v2 offset:9472                    // 000000006030: D9FE2500 D0000002
	v_mfma_f32_16x16x32_fp8_fp8 v[84:87], a[86:87], v[174:175], v[84:87]// 000000006038: D3F30054 0D535D56
	v_mfma_f32_16x16x32_fp8_fp8 v[84:87], a[88:89], v[176:177], v[84:87]// 000000006040: D3F30054 0D536158
	buffer_load_dwordx4 a[44:47], v34, s[24:27], 0 offen offset:3072// 000000006048: E05C1C00 80862C22
	v_mfma_f32_16x16x32_fp8_fp8 v[84:87], a[90:91], v[178:179], v[84:87]// 000000006050: D3F30054 0D53655A
	v_mfma_f32_16x16x32_fp8_fp8 v[84:87], a[92:93], v[180:181], v[84:87]// 000000006058: D3F30054 0D53695C
	ds_read_b128 v[212:215], v2 offset:9536                    // 000000006060: D9FE2540 D4000002
	v_mfma_f32_16x16x32_fp8_fp8 v[84:87], a[94:95], v[182:183], v[84:87]// 000000006068: D3F30054 0D536D5E
	s_add_u32 s60, 0x200, s80                                  // 000000006070: 803C50FF 00000200
	s_cmp_lt_u32 s60, s81                                      // 000000006078: BF0A513C
	s_cselect_b32 s57, s57, 0                                  // 00000000607C: 85398039
	s_add_u32 s60, 0x200, s80                                  // 000000006080: 803C50FF 00000200
	s_cmp_lt_u32 s60, s81                                      // 000000006088: BF0A513C
	s_cselect_b32 s58, s58, 0                                  // 00000000608C: 853A803A
	s_add_u32 s20, s57, s20                                    // 000000006090: 80141439
	s_addc_u32 s21, 0, s21                                     // 000000006094: 82151580
	s_add_u32 s24, s58, s24                                    // 000000006098: 8018183A
	s_addc_u32 s25, 0, s25                                     // 00000000609C: 82191980
	s_add_u32 s92, s90, s92                                    // 0000000060A0: 805C5C5A
	s_addc_u32 s93, 0, s93                                     // 0000000060A4: 825D5D80
	s_addk_i32 s80, 0x100                                      // 0000000060A8: B7500100
	s_cmp_lt_i32 s80, s81                                      // 0000000060AC: BF045150
	s_cbranch_scc0 label_0EA4                                  // 0000000060B0: BF840137
	s_waitcnt vmcnt(4) lgkmcnt(0)                              // 0000000060B4: BF8C0074
	s_barrier                                                  // 0000000060B8: BF8A0000
	v_mfma_f32_16x16x32_fp8_fp8 v[128:131], a[0:1], v[184:185], v[128:131]// 0000000060BC: D3F30080 0E037100
	buffer_load_dwordx4 a[48:51], v32, s[92:95], 0 offen       // 0000000060C4: E05C1000 80973020
	v_mfma_f32_16x16x32_fp8_fp8 v[128:131], a[2:3], v[186:187], v[128:131]// 0000000060CC: D3F30080 0E037502
	v_mfma_f32_16x16x32_fp8_fp8 v[128:131], a[4:5], v[188:189], v[128:131]// 0000000060D4: D3F30080 0E037904
	buffer_load_dword v24, s[20:23], 0 offen lds               // 0000000060DC: E0511000 80050018
	s_add_u32 m0, 0x100, s50                                   // 0000000060E4: 807C32FF 00000100
	v_mfma_f32_16x16x32_fp8_fp8 v[128:131], a[6:7], v[190:191], v[128:131]// 0000000060EC: D3F30080 0E037D06
	v_mfma_f32_16x16x32_fp8_fp8 v[128:131], a[8:9], v[192:193], v[128:131]// 0000000060F4: D3F30080 0E038108
	buffer_load_dwordx4 a[52:55], v32, s[92:95], 0 offen offset:1024// 0000000060FC: E05C1400 80973420
	v_mfma_f32_16x16x32_fp8_fp8 v[128:131], a[10:11], v[194:195], v[128:131]// 000000006104: D3F30080 0E03850A
	v_mfma_f32_16x16x32_fp8_fp8 v[128:131], a[12:13], v[196:197], v[128:131]// 00000000610C: D3F30080 0E03890C
	buffer_load_dword v25, s[20:23], 0 offen lds               // 000000006114: E0511000 80050019
	s_add_u32 m0, 0x200, s50                                   // 00000000611C: 807C32FF 00000200
	v_mfma_f32_16x16x32_fp8_fp8 v[128:131], a[14:15], v[198:199], v[128:131]// 000000006124: D3F30080 0E038D0E
	v_mfma_f32_16x16x32_fp8_fp8 v[132:135], a[0:1], v[200:201], v[132:135]// 00000000612C: D3F30084 0E139100
	buffer_load_dwordx4 a[56:59], v32, s[92:95], 0 offen offset:2048// 000000006134: E05C1800 80973820
	v_mfma_f32_16x16x32_fp8_fp8 v[132:135], a[2:3], v[202:203], v[132:135]// 00000000613C: D3F30084 0E139502
	v_mfma_f32_16x16x32_fp8_fp8 v[132:135], a[4:5], v[204:205], v[132:135]// 000000006144: D3F30084 0E139904
	buffer_load_dword v26, s[20:23], 0 offen lds               // 00000000614C: E0511000 8005001A
	s_add_u32 m0, 0x300, s50                                   // 000000006154: 807C32FF 00000300
	v_mfma_f32_16x16x32_fp8_fp8 v[132:135], a[6:7], v[206:207], v[132:135]// 00000000615C: D3F30084 0E139D06
	v_mfma_f32_16x16x32_fp8_fp8 v[132:135], a[8:9], v[208:209], v[132:135]// 000000006164: D3F30084 0E13A108
	buffer_load_dwordx4 a[60:63], v32, s[92:95], 0 offen offset:3072// 00000000616C: E05C1C00 80973C20
	v_mfma_f32_16x16x32_fp8_fp8 v[132:135], a[10:11], v[210:211], v[132:135]// 000000006174: D3F30084 0E13A50A
	v_mfma_f32_16x16x32_fp8_fp8 v[132:135], a[12:13], v[212:213], v[132:135]// 00000000617C: D3F30084 0E13A90C
	buffer_load_dword v27, s[20:23], 0 offen lds               // 000000006184: E0511000 8005001B
	s_add_u32 m0, 0x400, s50                                   // 00000000618C: 807C32FF 00000400
	v_mfma_f32_16x16x32_fp8_fp8 v[132:135], a[14:15], v[214:215], v[132:135]// 000000006194: D3F30084 0E13AD0E
	v_mfma_f32_16x16x32_fp8_fp8 v[136:139], a[16:17], v[184:185], v[136:139]// 00000000619C: D3F30088 0E237110
	buffer_load_dwordx4 a[64:67], v33, s[92:95], 0 offen       // 0000000061A4: E05C1000 80974021
	v_mfma_f32_16x16x32_fp8_fp8 v[136:139], a[18:19], v[186:187], v[136:139]// 0000000061AC: D3F30088 0E237512
	v_mfma_f32_16x16x32_fp8_fp8 v[136:139], a[20:21], v[188:189], v[136:139]// 0000000061B4: D3F30088 0E237914
	buffer_load_dword v28, s[20:23], 0 offen lds               // 0000000061BC: E0511000 8005001C
	s_add_u32 m0, 0x500, s50                                   // 0000000061C4: 807C32FF 00000500
	v_mfma_f32_16x16x32_fp8_fp8 v[136:139], a[22:23], v[190:191], v[136:139]// 0000000061CC: D3F30088 0E237D16
	v_mfma_f32_16x16x32_fp8_fp8 v[136:139], a[24:25], v[192:193], v[136:139]// 0000000061D4: D3F30088 0E238118
	buffer_load_dwordx4 a[68:71], v33, s[92:95], 0 offen offset:1024// 0000000061DC: E05C1400 80974421
	v_mfma_f32_16x16x32_fp8_fp8 v[136:139], a[26:27], v[194:195], v[136:139]// 0000000061E4: D3F30088 0E23851A
	v_mfma_f32_16x16x32_fp8_fp8 v[136:139], a[28:29], v[196:197], v[136:139]// 0000000061EC: D3F30088 0E23891C
	buffer_load_dword v29, s[20:23], 0 offen lds               // 0000000061F4: E0511000 8005001D
	s_add_u32 m0, 0x600, s50                                   // 0000000061FC: 807C32FF 00000600
	v_mfma_f32_16x16x32_fp8_fp8 v[136:139], a[30:31], v[198:199], v[136:139]// 000000006204: D3F30088 0E238D1E
	v_mfma_f32_16x16x32_fp8_fp8 v[140:143], a[16:17], v[200:201], v[140:143]// 00000000620C: D3F3008C 0E339110
	buffer_load_dwordx4 a[72:75], v33, s[92:95], 0 offen offset:2048// 000000006214: E05C1800 80974821
	v_mfma_f32_16x16x32_fp8_fp8 v[140:143], a[18:19], v[202:203], v[140:143]// 00000000621C: D3F3008C 0E339512
	v_mfma_f32_16x16x32_fp8_fp8 v[140:143], a[20:21], v[204:205], v[140:143]// 000000006224: D3F3008C 0E339914
	buffer_load_dword v30, s[20:23], 0 offen lds               // 00000000622C: E0511000 8005001E
	s_add_u32 m0, 0x700, s50                                   // 000000006234: 807C32FF 00000700
	v_mfma_f32_16x16x32_fp8_fp8 v[140:143], a[22:23], v[206:207], v[140:143]// 00000000623C: D3F3008C 0E339D16
	v_mfma_f32_16x16x32_fp8_fp8 v[140:143], a[24:25], v[208:209], v[140:143]// 000000006244: D3F3008C 0E33A118
	buffer_load_dwordx4 a[76:79], v33, s[92:95], 0 offen offset:3072// 00000000624C: E05C1C00 80974C21
	v_mfma_f32_16x16x32_fp8_fp8 v[140:143], a[26:27], v[210:211], v[140:143]// 000000006254: D3F3008C 0E33A51A
	v_mfma_f32_16x16x32_fp8_fp8 v[140:143], a[28:29], v[212:213], v[140:143]// 00000000625C: D3F3008C 0E33A91C
	buffer_load_dword v31, s[20:23], 0 offen lds               // 000000006264: E0511000 8005001F
	s_add_u32 m0, 0, s51                                       // 00000000626C: 807C3380
	v_mfma_f32_16x16x32_fp8_fp8 v[140:143], a[30:31], v[214:215], v[140:143]// 000000006270: D3F3008C 0E33AD1E
	s_waitcnt vmcnt(16)                                        // 000000006278: BF8C4F70
	v_mfma_f32_16x16x32_fp8_fp8 v[144:147], a[32:33], v[184:185], v[144:147]// 00000000627C: D3F30090 0E437120
	buffer_load_dwordx4 a[80:83], v34, s[92:95], 0 offen       // 000000006284: E05C1000 80975022
	v_mfma_f32_16x16x32_fp8_fp8 v[144:147], a[34:35], v[186:187], v[144:147]// 00000000628C: D3F30090 0E437522
	v_mfma_f32_16x16x32_fp8_fp8 v[144:147], a[36:37], v[188:189], v[144:147]// 000000006294: D3F30090 0E437924
	v_mfma_f32_16x16x32_fp8_fp8 v[144:147], a[38:39], v[190:191], v[144:147]// 00000000629C: D3F30090 0E437D26
	v_mfma_f32_16x16x32_fp8_fp8 v[144:147], a[40:41], v[192:193], v[144:147]// 0000000062A4: D3F30090 0E438128
	buffer_load_dwordx4 a[84:87], v34, s[92:95], 0 offen offset:1024// 0000000062AC: E05C1400 80975422
	v_mfma_f32_16x16x32_fp8_fp8 v[144:147], a[42:43], v[194:195], v[144:147]// 0000000062B4: D3F30090 0E43852A
	v_mfma_f32_16x16x32_fp8_fp8 v[144:147], a[44:45], v[196:197], v[144:147]// 0000000062BC: D3F30090 0E43892C
	v_mfma_f32_16x16x32_fp8_fp8 v[144:147], a[46:47], v[198:199], v[144:147]// 0000000062C4: D3F30090 0E438D2E
	v_mfma_f32_16x16x32_fp8_fp8 v[148:151], a[32:33], v[200:201], v[148:151]// 0000000062CC: D3F30094 0E539120
	buffer_load_dwordx4 a[88:91], v34, s[92:95], 0 offen offset:2048// 0000000062D4: E05C1800 80975822
	v_mfma_f32_16x16x32_fp8_fp8 v[148:151], a[34:35], v[202:203], v[148:151]// 0000000062DC: D3F30094 0E539522
	v_mfma_f32_16x16x32_fp8_fp8 v[148:151], a[36:37], v[204:205], v[148:151]// 0000000062E4: D3F30094 0E539924
	v_mfma_f32_16x16x32_fp8_fp8 v[148:151], a[38:39], v[206:207], v[148:151]// 0000000062EC: D3F30094 0E539D26
	v_mfma_f32_16x16x32_fp8_fp8 v[148:151], a[40:41], v[208:209], v[148:151]// 0000000062F4: D3F30094 0E53A128
	buffer_load_dwordx4 a[92:95], v34, s[92:95], 0 offen offset:3072// 0000000062FC: E05C1C00 80975C22
	v_mfma_f32_16x16x32_fp8_fp8 v[148:151], a[42:43], v[210:211], v[148:151]// 000000006304: D3F30094 0E53A52A
	v_mfma_f32_16x16x32_fp8_fp8 v[148:151], a[44:45], v[212:213], v[148:151]// 00000000630C: D3F30094 0E53A92C
	v_mfma_f32_16x16x32_fp8_fp8 v[148:151], a[46:47], v[214:215], v[148:151]// 000000006314: D3F30094 0E53AD2E
	s_waitcnt vmcnt(4)                                         // 00000000631C: BF8C0F74
	s_barrier                                                  // 000000006320: BF8A0000
	v_mfma_f32_16x16x32_fp8_fp8 v[64:67], a[48:49], v[184:185], v[64:67]// 000000006324: D3F30040 0D037130
	buffer_load_dwordx4 a[0:3], v32, s[24:27], 0 offen         // 00000000632C: E05C1000 80860020
	v_mfma_f32_16x16x32_fp8_fp8 v[64:67], a[50:51], v[186:187], v[64:67]// 000000006334: D3F30040 0D037532
	v_mfma_f32_16x16x32_fp8_fp8 v[64:67], a[52:53], v[188:189], v[64:67]// 00000000633C: D3F30040 0D037934
	v_mfma_f32_16x16x32_fp8_fp8 v[64:67], a[54:55], v[190:191], v[64:67]// 000000006344: D3F30040 0D037D36
	v_mfma_f32_16x16x32_fp8_fp8 v[64:67], a[56:57], v[192:193], v[64:67]// 00000000634C: D3F30040 0D038138
	buffer_load_dwordx4 a[4:7], v32, s[24:27], 0 offen offset:1024// 000000006354: E05C1400 80860420
	v_mfma_f32_16x16x32_fp8_fp8 v[64:67], a[58:59], v[194:195], v[64:67]// 00000000635C: D3F30040 0D03853A
	v_mfma_f32_16x16x32_fp8_fp8 v[64:67], a[60:61], v[196:197], v[64:67]// 000000006364: D3F30040 0D03893C
	v_mfma_f32_16x16x32_fp8_fp8 v[64:67], a[62:63], v[198:199], v[64:67]// 00000000636C: D3F30040 0D038D3E
	v_mfma_f32_16x16x32_fp8_fp8 v[68:71], a[48:49], v[200:201], v[68:71]// 000000006374: D3F30044 0D139130
	buffer_load_dwordx4 a[8:11], v32, s[24:27], 0 offen offset:2048// 00000000637C: E05C1800 80860820
	v_mfma_f32_16x16x32_fp8_fp8 v[68:71], a[50:51], v[202:203], v[68:71]// 000000006384: D3F30044 0D139532
	v_mfma_f32_16x16x32_fp8_fp8 v[68:71], a[52:53], v[204:205], v[68:71]// 00000000638C: D3F30044 0D139934
	v_mfma_f32_16x16x32_fp8_fp8 v[68:71], a[54:55], v[206:207], v[68:71]// 000000006394: D3F30044 0D139D36
	v_mfma_f32_16x16x32_fp8_fp8 v[68:71], a[56:57], v[208:209], v[68:71]// 00000000639C: D3F30044 0D13A138
	buffer_load_dwordx4 a[12:15], v32, s[24:27], 0 offen offset:3072// 0000000063A4: E05C1C00 80860C20
	v_mfma_f32_16x16x32_fp8_fp8 v[68:71], a[58:59], v[210:211], v[68:71]// 0000000063AC: D3F30044 0D13A53A
	v_mfma_f32_16x16x32_fp8_fp8 v[68:71], a[60:61], v[212:213], v[68:71]// 0000000063B4: D3F30044 0D13A93C
	v_mfma_f32_16x16x32_fp8_fp8 v[68:71], a[62:63], v[214:215], v[68:71]// 0000000063BC: D3F30044 0D13AD3E
	v_mfma_f32_16x16x32_fp8_fp8 v[72:75], a[64:65], v[184:185], v[72:75]// 0000000063C4: D3F30048 0D237140
	buffer_load_dwordx4 a[16:19], v33, s[24:27], 0 offen       // 0000000063CC: E05C1000 80861021
	v_mfma_f32_16x16x32_fp8_fp8 v[72:75], a[66:67], v[186:187], v[72:75]// 0000000063D4: D3F30048 0D237542
	v_mfma_f32_16x16x32_fp8_fp8 v[72:75], a[68:69], v[188:189], v[72:75]// 0000000063DC: D3F30048 0D237944
	ds_read_b128 v[152:155], v2                                // 0000000063E4: D9FE0000 98000002
	v_mfma_f32_16x16x32_fp8_fp8 v[72:75], a[70:71], v[190:191], v[72:75]// 0000000063EC: D3F30048 0D237D46
	v_mfma_f32_16x16x32_fp8_fp8 v[72:75], a[72:73], v[192:193], v[72:75]// 0000000063F4: D3F30048 0D238148
	buffer_load_dwordx4 a[20:23], v33, s[24:27], 0 offen offset:1024// 0000000063FC: E05C1400 80861421
	v_mfma_f32_16x16x32_fp8_fp8 v[72:75], a[74:75], v[194:195], v[72:75]// 000000006404: D3F30048 0D23854A
	v_mfma_f32_16x16x32_fp8_fp8 v[72:75], a[76:77], v[196:197], v[72:75]// 00000000640C: D3F30048 0D23894C
	ds_read_b128 v[156:159], v2 offset:64                      // 000000006414: D9FE0040 9C000002
	v_mfma_f32_16x16x32_fp8_fp8 v[72:75], a[78:79], v[198:199], v[72:75]// 00000000641C: D3F30048 0D238D4E
	v_mfma_f32_16x16x32_fp8_fp8 v[76:79], a[64:65], v[200:201], v[76:79]// 000000006424: D3F3004C 0D339140
	buffer_load_dwordx4 a[24:27], v33, s[24:27], 0 offen offset:2048// 00000000642C: E05C1800 80861821
	v_mfma_f32_16x16x32_fp8_fp8 v[76:79], a[66:67], v[202:203], v[76:79]// 000000006434: D3F3004C 0D339542
	v_mfma_f32_16x16x32_fp8_fp8 v[76:79], a[68:69], v[204:205], v[76:79]// 00000000643C: D3F3004C 0D339944
	ds_read_b128 v[160:163], v2 offset:128                     // 000000006444: D9FE0080 A0000002
	v_mfma_f32_16x16x32_fp8_fp8 v[76:79], a[70:71], v[206:207], v[76:79]// 00000000644C: D3F3004C 0D339D46
	v_mfma_f32_16x16x32_fp8_fp8 v[76:79], a[72:73], v[208:209], v[76:79]// 000000006454: D3F3004C 0D33A148
	buffer_load_dwordx4 a[28:31], v33, s[24:27], 0 offen offset:3072// 00000000645C: E05C1C00 80861C21
	v_mfma_f32_16x16x32_fp8_fp8 v[76:79], a[74:75], v[210:211], v[76:79]// 000000006464: D3F3004C 0D33A54A
	v_mfma_f32_16x16x32_fp8_fp8 v[76:79], a[76:77], v[212:213], v[76:79]// 00000000646C: D3F3004C 0D33A94C
	ds_read_b128 v[164:167], v2 offset:192                     // 000000006474: D9FE00C0 A4000002
	v_mfma_f32_16x16x32_fp8_fp8 v[76:79], a[78:79], v[214:215], v[76:79]// 00000000647C: D3F3004C 0D33AD4E
	s_waitcnt vmcnt(8)                                         // 000000006484: BF8C0F78
	v_mfma_f32_16x16x32_fp8_fp8 v[80:83], a[80:81], v[184:185], v[80:83]// 000000006488: D3F30050 0D437150
	buffer_load_dwordx4 a[32:35], v34, s[24:27], 0 offen       // 000000006490: E05C1000 80862022
	v_mfma_f32_16x16x32_fp8_fp8 v[80:83], a[82:83], v[186:187], v[80:83]// 000000006498: D3F30050 0D437552
	v_mfma_f32_16x16x32_fp8_fp8 v[80:83], a[84:85], v[188:189], v[80:83]// 0000000064A0: D3F30050 0D437954
	ds_read_b128 v[168:171], v2 offset:1024                    // 0000000064A8: D9FE0400 A8000002
	v_mfma_f32_16x16x32_fp8_fp8 v[80:83], a[86:87], v[190:191], v[80:83]// 0000000064B0: D3F30050 0D437D56
	v_mfma_f32_16x16x32_fp8_fp8 v[80:83], a[88:89], v[192:193], v[80:83]// 0000000064B8: D3F30050 0D438158
	buffer_load_dwordx4 a[36:39], v34, s[24:27], 0 offen offset:1024// 0000000064C0: E05C1400 80862422
	v_mfma_f32_16x16x32_fp8_fp8 v[80:83], a[90:91], v[194:195], v[80:83]// 0000000064C8: D3F30050 0D43855A
	v_mfma_f32_16x16x32_fp8_fp8 v[80:83], a[92:93], v[196:197], v[80:83]// 0000000064D0: D3F30050 0D43895C
	ds_read_b128 v[172:175], v2 offset:1088                    // 0000000064D8: D9FE0440 AC000002
	v_mfma_f32_16x16x32_fp8_fp8 v[80:83], a[94:95], v[198:199], v[80:83]// 0000000064E0: D3F30050 0D438D5E
	v_mfma_f32_16x16x32_fp8_fp8 v[84:87], a[80:81], v[200:201], v[84:87]// 0000000064E8: D3F30054 0D539150
	buffer_load_dwordx4 a[40:43], v34, s[24:27], 0 offen offset:2048// 0000000064F0: E05C1800 80862822
	v_mfma_f32_16x16x32_fp8_fp8 v[84:87], a[82:83], v[202:203], v[84:87]// 0000000064F8: D3F30054 0D539552
	v_mfma_f32_16x16x32_fp8_fp8 v[84:87], a[84:85], v[204:205], v[84:87]// 000000006500: D3F30054 0D539954
	ds_read_b128 v[176:179], v2 offset:1152                    // 000000006508: D9FE0480 B0000002
	v_mfma_f32_16x16x32_fp8_fp8 v[84:87], a[86:87], v[206:207], v[84:87]// 000000006510: D3F30054 0D539D56
	v_mfma_f32_16x16x32_fp8_fp8 v[84:87], a[88:89], v[208:209], v[84:87]// 000000006518: D3F30054 0D53A158
	buffer_load_dwordx4 a[44:47], v34, s[24:27], 0 offen offset:3072// 000000006520: E05C1C00 80862C22
	v_mfma_f32_16x16x32_fp8_fp8 v[84:87], a[90:91], v[210:211], v[84:87]// 000000006528: D3F30054 0D53A55A
	v_mfma_f32_16x16x32_fp8_fp8 v[84:87], a[92:93], v[212:213], v[84:87]// 000000006530: D3F30054 0D53A95C
	ds_read_b128 v[180:183], v2 offset:1216                    // 000000006538: D9FE04C0 B4000002
	v_mfma_f32_16x16x32_fp8_fp8 v[84:87], a[94:95], v[214:215], v[84:87]// 000000006540: D3F30054 0D53AD5E
	s_add_u32 s60, 0x200, s80                                  // 000000006548: 803C50FF 00000200
	s_cmp_lt_u32 s60, s81                                      // 000000006550: BF0A513C
	s_cselect_b32 s57, s57, 0                                  // 000000006554: 85398039
	s_add_u32 s60, 0x200, s80                                  // 000000006558: 803C50FF 00000200
	s_cmp_lt_u32 s60, s81                                      // 000000006560: BF0A513C
	s_cselect_b32 s58, s58, 0                                  // 000000006564: 853A803A
	s_add_u32 s20, s57, s20                                    // 000000006568: 80141439
	s_addc_u32 s21, 0, s21                                     // 00000000656C: 82151580
	s_add_u32 s24, s58, s24                                    // 000000006570: 8018183A
	s_addc_u32 s25, 0, s25                                     // 000000006574: 82191980
	s_add_u32 s92, s90, s92                                    // 000000006578: 805C5C5A
	s_addc_u32 s93, 0, s93                                     // 00000000657C: 825D5D80
	s_addk_i32 s80, 0x100                                      // 000000006580: B7500100
	s_cmp_lt_i32 s80, s81                                      // 000000006584: BF045150
	s_cbranch_scc0 label_0EA4                                  // 000000006588: BF840001
	s_branch label_0C37                                        // 00000000658C: BF82FD93

0000000000006590 <label_0EA4>:
	s_mov_b32 s36, -1                                          // 000000006590: BEA400C1
	s_mov_b32 s37, -1                                          // 000000006594: BEA500C1
	s_mov_b64 s[60:61], 0                                      // 000000006598: BEBC0180
	s_cmp_lt_u32 s82, s66                                      // 00000000659C: BF0A4252
	s_cselect_b64 s[20:21], s[36:37], s[60:61]                 // 0000000065A0: 85943C24
	s_cmp_lt_u32 s83, s66                                      // 0000000065A4: BF0A4253
	s_cselect_b64 s[22:23], s[36:37], s[60:61]                 // 0000000065A8: 85963C24
	s_cmp_lt_u32 s84, s66                                      // 0000000065AC: BF0A4254
	s_cselect_b64 s[24:25], s[36:37], s[60:61]                 // 0000000065B0: 85983C24
	s_cmp_lt_u32 s85, s66                                      // 0000000065B4: BF0A4255
	s_cselect_b64 s[26:27], s[36:37], s[60:61]                 // 0000000065B8: 859A3C24
	s_cmp_lt_u32 s86, s66                                      // 0000000065BC: BF0A4256
	s_cselect_b64 s[28:29], s[36:37], s[60:61]                 // 0000000065C0: 859C3C24
	s_cmp_lt_u32 s87, s66                                      // 0000000065C4: BF0A4257
	s_cselect_b64 s[30:31], s[36:37], s[60:61]                 // 0000000065C8: 859E3C24
	s_cmp_lt_u32 s88, s66                                      // 0000000065CC: BF0A4258
	s_cselect_b64 s[32:33], s[36:37], s[60:61]                 // 0000000065D0: 85A03C24
	s_cmp_lt_u32 s89, s66                                      // 0000000065D4: BF0A4259
	s_cselect_b64 s[34:35], s[36:37], s[60:61]                 // 0000000065D8: 85A23C24
	v_mul_f32_e32 v128, v13, v128                              // 0000000065DC: 0B01010D
	v_mul_f32_e32 v128, v17, v128                              // 0000000065E0: 0B010111
	v_mul_f32_e32 v129, v13, v129                              // 0000000065E4: 0B03030D
	v_mul_f32_e32 v129, v17, v129                              // 0000000065E8: 0B030311
	v_mul_f32_e32 v130, v13, v130                              // 0000000065EC: 0B05050D
	v_mul_f32_e32 v130, v17, v130                              // 0000000065F0: 0B050511
	v_mul_f32_e32 v131, v13, v131                              // 0000000065F4: 0B07070D
	v_mul_f32_e32 v131, v17, v131                              // 0000000065F8: 0B070711
	v_mul_f32_dpp v128, v15, v128 row_newbcast:0 row_mask:0xf bank_mask:0xf// 0000000065FC: 0B0100FA FF01500F
	v_mul_f32_dpp v129, v15, v129 row_newbcast:1 row_mask:0xf bank_mask:0xf// 000000006604: 0B0302FA FF01510F
	v_mul_f32_dpp v130, v15, v130 row_newbcast:2 row_mask:0xf bank_mask:0xf// 00000000660C: 0B0504FA FF01520F
	v_mul_f32_dpp v131, v15, v131 row_newbcast:3 row_mask:0xf bank_mask:0xf// 000000006614: 0B0706FA FF01530F
	v_mul_f32_e32 v132, v14, v132                              // 00000000661C: 0B09090E
	v_mul_f32_e32 v132, v18, v132                              // 000000006620: 0B090912
	v_mul_f32_e32 v133, v14, v133                              // 000000006624: 0B0B0B0E
	v_mul_f32_e32 v133, v18, v133                              // 000000006628: 0B0B0B12
	v_mul_f32_e32 v134, v14, v134                              // 00000000662C: 0B0D0D0E
	v_mul_f32_e32 v134, v18, v134                              // 000000006630: 0B0D0D12
	v_mul_f32_e32 v135, v14, v135                              // 000000006634: 0B0F0F0E
	v_mul_f32_e32 v135, v18, v135                              // 000000006638: 0B0F0F12
	v_mul_f32_dpp v132, v15, v132 row_newbcast:0 row_mask:0xf bank_mask:0xf// 00000000663C: 0B0908FA FF01500F
	v_mul_f32_dpp v133, v15, v133 row_newbcast:1 row_mask:0xf bank_mask:0xf// 000000006644: 0B0B0AFA FF01510F
	v_mul_f32_dpp v134, v15, v134 row_newbcast:2 row_mask:0xf bank_mask:0xf// 00000000664C: 0B0D0CFA FF01520F
	v_mul_f32_dpp v135, v15, v135 row_newbcast:3 row_mask:0xf bank_mask:0xf// 000000006654: 0B0F0EFA FF01530F
	v_mul_f32_e32 v136, v13, v136                              // 00000000665C: 0B11110D
	v_mul_f32_e32 v136, v17, v136                              // 000000006660: 0B111111
	v_mul_f32_e32 v137, v13, v137                              // 000000006664: 0B13130D
	v_mul_f32_e32 v137, v17, v137                              // 000000006668: 0B131311
	v_mul_f32_e32 v138, v13, v138                              // 00000000666C: 0B15150D
	v_mul_f32_e32 v138, v17, v138                              // 000000006670: 0B151511
	v_mul_f32_e32 v139, v13, v139                              // 000000006674: 0B17170D
	v_mul_f32_e32 v139, v17, v139                              // 000000006678: 0B171711
	v_mul_f32_dpp v136, v15, v136 row_newbcast:4 row_mask:0xf bank_mask:0xf// 00000000667C: 0B1110FA FF01540F
	v_mul_f32_dpp v137, v15, v137 row_newbcast:5 row_mask:0xf bank_mask:0xf// 000000006684: 0B1312FA FF01550F
	v_mul_f32_dpp v138, v15, v138 row_newbcast:6 row_mask:0xf bank_mask:0xf// 00000000668C: 0B1514FA FF01560F
	v_mul_f32_dpp v139, v15, v139 row_newbcast:7 row_mask:0xf bank_mask:0xf// 000000006694: 0B1716FA FF01570F
	v_mul_f32_e32 v140, v14, v140                              // 00000000669C: 0B19190E
	v_mul_f32_e32 v140, v18, v140                              // 0000000066A0: 0B191912
	v_mul_f32_e32 v141, v14, v141                              // 0000000066A4: 0B1B1B0E
	v_mul_f32_e32 v141, v18, v141                              // 0000000066A8: 0B1B1B12
	v_mul_f32_e32 v142, v14, v142                              // 0000000066AC: 0B1D1D0E
	v_mul_f32_e32 v142, v18, v142                              // 0000000066B0: 0B1D1D12
	v_mul_f32_e32 v143, v14, v143                              // 0000000066B4: 0B1F1F0E
	v_mul_f32_e32 v143, v18, v143                              // 0000000066B8: 0B1F1F12
	v_mul_f32_dpp v140, v15, v140 row_newbcast:4 row_mask:0xf bank_mask:0xf// 0000000066BC: 0B1918FA FF01540F
	v_mul_f32_dpp v141, v15, v141 row_newbcast:5 row_mask:0xf bank_mask:0xf// 0000000066C4: 0B1B1AFA FF01550F
	v_mul_f32_dpp v142, v15, v142 row_newbcast:6 row_mask:0xf bank_mask:0xf// 0000000066CC: 0B1D1CFA FF01560F
	v_mul_f32_dpp v143, v15, v143 row_newbcast:7 row_mask:0xf bank_mask:0xf// 0000000066D4: 0B1F1EFA FF01570F
	v_mul_f32_e32 v144, v13, v144                              // 0000000066DC: 0B21210D
	v_mul_f32_e32 v144, v17, v144                              // 0000000066E0: 0B212111
	v_mul_f32_e32 v145, v13, v145                              // 0000000066E4: 0B23230D
	v_mul_f32_e32 v145, v17, v145                              // 0000000066E8: 0B232311
	v_mul_f32_e32 v146, v13, v146                              // 0000000066EC: 0B25250D
	v_mul_f32_e32 v146, v17, v146                              // 0000000066F0: 0B252511
	v_mul_f32_e32 v147, v13, v147                              // 0000000066F4: 0B27270D
	v_mul_f32_e32 v147, v17, v147                              // 0000000066F8: 0B272711
	v_mul_f32_dpp v144, v15, v144 row_newbcast:8 row_mask:0xf bank_mask:0xf// 0000000066FC: 0B2120FA FF01580F
	v_mul_f32_dpp v145, v15, v145 row_newbcast:9 row_mask:0xf bank_mask:0xf// 000000006704: 0B2322FA FF01590F
	v_mul_f32_dpp v146, v15, v146 row_newbcast:10 row_mask:0xf bank_mask:0xf// 00000000670C: 0B2524FA FF015A0F
	v_mul_f32_dpp v147, v15, v147 row_newbcast:11 row_mask:0xf bank_mask:0xf// 000000006714: 0B2726FA FF015B0F
	v_mul_f32_e32 v148, v14, v148                              // 00000000671C: 0B29290E
	v_mul_f32_e32 v148, v18, v148                              // 000000006720: 0B292912
	v_mul_f32_e32 v149, v14, v149                              // 000000006724: 0B2B2B0E
	v_mul_f32_e32 v149, v18, v149                              // 000000006728: 0B2B2B12
	v_mul_f32_e32 v150, v14, v150                              // 00000000672C: 0B2D2D0E
	v_mul_f32_e32 v150, v18, v150                              // 000000006730: 0B2D2D12
	v_mul_f32_e32 v151, v14, v151                              // 000000006734: 0B2F2F0E
	v_mul_f32_e32 v151, v18, v151                              // 000000006738: 0B2F2F12
	v_mul_f32_dpp v148, v15, v148 row_newbcast:8 row_mask:0xf bank_mask:0xf// 00000000673C: 0B2928FA FF01580F
	v_mul_f32_dpp v149, v15, v149 row_newbcast:9 row_mask:0xf bank_mask:0xf// 000000006744: 0B2B2AFA FF01590F
	v_mul_f32_dpp v150, v15, v150 row_newbcast:10 row_mask:0xf bank_mask:0xf// 00000000674C: 0B2D2CFA FF015A0F
	v_mul_f32_dpp v151, v15, v151 row_newbcast:11 row_mask:0xf bank_mask:0xf// 000000006754: 0B2F2EFA FF015B0F
	v_mul_f32_e32 v64, v13, v64                                // 00000000675C: 0A80810D
	v_mul_f32_e32 v64, v17, v64                                // 000000006760: 0A808111
	v_mul_f32_e32 v65, v13, v65                                // 000000006764: 0A82830D
	v_mul_f32_e32 v65, v17, v65                                // 000000006768: 0A828311
	v_mul_f32_e32 v66, v13, v66                                // 00000000676C: 0A84850D
	v_mul_f32_e32 v66, v17, v66                                // 000000006770: 0A848511
	v_mul_f32_e32 v67, v13, v67                                // 000000006774: 0A86870D
	v_mul_f32_e32 v67, v17, v67                                // 000000006778: 0A868711
	v_mul_f32_dpp v64, v43, v64 row_newbcast:0 row_mask:0xf bank_mask:0xf// 00000000677C: 0A8080FA FF01502B
	v_mul_f32_dpp v65, v43, v65 row_newbcast:1 row_mask:0xf bank_mask:0xf// 000000006784: 0A8282FA FF01512B
	v_mul_f32_dpp v66, v43, v66 row_newbcast:2 row_mask:0xf bank_mask:0xf// 00000000678C: 0A8484FA FF01522B
	v_mul_f32_dpp v67, v43, v67 row_newbcast:3 row_mask:0xf bank_mask:0xf// 000000006794: 0A8686FA FF01532B
	v_mul_f32_e32 v68, v14, v68                                // 00000000679C: 0A88890E
	v_mul_f32_e32 v68, v18, v68                                // 0000000067A0: 0A888912
	v_mul_f32_e32 v69, v14, v69                                // 0000000067A4: 0A8A8B0E
	v_mul_f32_e32 v69, v18, v69                                // 0000000067A8: 0A8A8B12
	v_mul_f32_e32 v70, v14, v70                                // 0000000067AC: 0A8C8D0E
	v_mul_f32_e32 v70, v18, v70                                // 0000000067B0: 0A8C8D12
	v_mul_f32_e32 v71, v14, v71                                // 0000000067B4: 0A8E8F0E
	v_mul_f32_e32 v71, v18, v71                                // 0000000067B8: 0A8E8F12
	v_mul_f32_dpp v68, v43, v68 row_newbcast:0 row_mask:0xf bank_mask:0xf// 0000000067BC: 0A8888FA FF01502B
	v_mul_f32_dpp v69, v43, v69 row_newbcast:1 row_mask:0xf bank_mask:0xf// 0000000067C4: 0A8A8AFA FF01512B
	v_mul_f32_dpp v70, v43, v70 row_newbcast:2 row_mask:0xf bank_mask:0xf// 0000000067CC: 0A8C8CFA FF01522B
	v_mul_f32_dpp v71, v43, v71 row_newbcast:3 row_mask:0xf bank_mask:0xf// 0000000067D4: 0A8E8EFA FF01532B
	v_mul_f32_e32 v72, v13, v72                                // 0000000067DC: 0A90910D
	v_mul_f32_e32 v72, v17, v72                                // 0000000067E0: 0A909111
	v_mul_f32_e32 v73, v13, v73                                // 0000000067E4: 0A92930D
	v_mul_f32_e32 v73, v17, v73                                // 0000000067E8: 0A929311
	v_mul_f32_e32 v74, v13, v74                                // 0000000067EC: 0A94950D
	v_mul_f32_e32 v74, v17, v74                                // 0000000067F0: 0A949511
	v_mul_f32_e32 v75, v13, v75                                // 0000000067F4: 0A96970D
	v_mul_f32_e32 v75, v17, v75                                // 0000000067F8: 0A969711
	v_mul_f32_dpp v72, v43, v72 row_newbcast:4 row_mask:0xf bank_mask:0xf// 0000000067FC: 0A9090FA FF01542B
	v_mul_f32_dpp v73, v43, v73 row_newbcast:5 row_mask:0xf bank_mask:0xf// 000000006804: 0A9292FA FF01552B
	v_mul_f32_dpp v74, v43, v74 row_newbcast:6 row_mask:0xf bank_mask:0xf// 00000000680C: 0A9494FA FF01562B
	v_mul_f32_dpp v75, v43, v75 row_newbcast:7 row_mask:0xf bank_mask:0xf// 000000006814: 0A9696FA FF01572B
	v_mul_f32_e32 v76, v14, v76                                // 00000000681C: 0A98990E
	v_mul_f32_e32 v76, v18, v76                                // 000000006820: 0A989912
	v_mul_f32_e32 v77, v14, v77                                // 000000006824: 0A9A9B0E
	v_mul_f32_e32 v77, v18, v77                                // 000000006828: 0A9A9B12
	v_mul_f32_e32 v78, v14, v78                                // 00000000682C: 0A9C9D0E
	v_mul_f32_e32 v78, v18, v78                                // 000000006830: 0A9C9D12
	v_mul_f32_e32 v79, v14, v79                                // 000000006834: 0A9E9F0E
	v_mul_f32_e32 v79, v18, v79                                // 000000006838: 0A9E9F12
	v_mul_f32_dpp v76, v43, v76 row_newbcast:4 row_mask:0xf bank_mask:0xf// 00000000683C: 0A9898FA FF01542B
	v_mul_f32_dpp v77, v43, v77 row_newbcast:5 row_mask:0xf bank_mask:0xf// 000000006844: 0A9A9AFA FF01552B
	v_mul_f32_dpp v78, v43, v78 row_newbcast:6 row_mask:0xf bank_mask:0xf// 00000000684C: 0A9C9CFA FF01562B
	v_mul_f32_dpp v79, v43, v79 row_newbcast:7 row_mask:0xf bank_mask:0xf// 000000006854: 0A9E9EFA FF01572B
	v_mul_f32_e32 v80, v13, v80                                // 00000000685C: 0AA0A10D
	v_mul_f32_e32 v80, v17, v80                                // 000000006860: 0AA0A111
	v_mul_f32_e32 v81, v13, v81                                // 000000006864: 0AA2A30D
	v_mul_f32_e32 v81, v17, v81                                // 000000006868: 0AA2A311
	v_mul_f32_e32 v82, v13, v82                                // 00000000686C: 0AA4A50D
	v_mul_f32_e32 v82, v17, v82                                // 000000006870: 0AA4A511
	v_mul_f32_e32 v83, v13, v83                                // 000000006874: 0AA6A70D
	v_mul_f32_e32 v83, v17, v83                                // 000000006878: 0AA6A711
	v_mul_f32_dpp v80, v43, v80 row_newbcast:8 row_mask:0xf bank_mask:0xf// 00000000687C: 0AA0A0FA FF01582B
	v_mul_f32_dpp v81, v43, v81 row_newbcast:9 row_mask:0xf bank_mask:0xf// 000000006884: 0AA2A2FA FF01592B
	v_mul_f32_dpp v82, v43, v82 row_newbcast:10 row_mask:0xf bank_mask:0xf// 00000000688C: 0AA4A4FA FF015A2B
	v_mul_f32_dpp v83, v43, v83 row_newbcast:11 row_mask:0xf bank_mask:0xf// 000000006894: 0AA6A6FA FF015B2B
	v_mul_f32_e32 v84, v14, v84                                // 00000000689C: 0AA8A90E
	v_mul_f32_e32 v84, v18, v84                                // 0000000068A0: 0AA8A912
	v_mul_f32_e32 v85, v14, v85                                // 0000000068A4: 0AAAAB0E
	v_mul_f32_e32 v85, v18, v85                                // 0000000068A8: 0AAAAB12
	v_mul_f32_e32 v86, v14, v86                                // 0000000068AC: 0AACAD0E
	v_mul_f32_e32 v86, v18, v86                                // 0000000068B0: 0AACAD12
	v_mul_f32_e32 v87, v14, v87                                // 0000000068B4: 0AAEAF0E
	v_mul_f32_e32 v87, v18, v87                                // 0000000068B8: 0AAEAF12
	v_mul_f32_dpp v84, v43, v84 row_newbcast:8 row_mask:0xf bank_mask:0xf// 0000000068BC: 0AA8A8FA FF01582B
	v_mul_f32_dpp v85, v43, v85 row_newbcast:9 row_mask:0xf bank_mask:0xf// 0000000068C4: 0AAAAAFA FF01592B
	v_mul_f32_dpp v86, v43, v86 row_newbcast:10 row_mask:0xf bank_mask:0xf// 0000000068CC: 0AACACFA FF015A2B
	v_mul_f32_dpp v87, v43, v87 row_newbcast:11 row_mask:0xf bank_mask:0xf// 0000000068D4: 0AAEAEFA FF015B2B
	s_waitcnt vmcnt(8)                                         // 0000000068DC: BF8C0F78
	buffer_load_dwordx4 a[0:3], v35, s[12:15], 0 offen         // 0000000068E0: E05C1000 80830023
	v_mul_f32_e32 v44, v128, v128                              // 0000000068E8: 0A590180
	v_mul_f32_e32 v45, v129, v129                              // 0000000068EC: 0A5B0381
	v_mul_f32_e32 v46, v130, v130                              // 0000000068F0: 0A5D0582
	v_mul_f32_e32 v47, v131, v131                              // 0000000068F4: 0A5F0783
	v_fma_f32 v44, v44, s77, v1                                // 0000000068F8: D1CB002C 04049B2C
	v_fma_f32 v45, v45, s77, v1                                // 000000006900: D1CB002D 04049B2D
	v_fma_f32 v46, v46, s77, v1                                // 000000006908: D1CB002E 04049B2E
	v_fma_f32 v47, v47, s77, v1                                // 000000006910: D1CB002F 04049B2F
	v_mul_f32_e32 v44, v44, v128                               // 000000006918: 0A59012C
	v_mul_f32_e32 v45, v45, v129                               // 00000000691C: 0A5B032D
	v_mul_f32_e32 v46, v46, v130                               // 000000006920: 0A5D052E
	v_mul_f32_e32 v47, v47, v131                               // 000000006924: 0A5F072F
	v_mul_f32_e64 v44, v44, s6                                 // 000000006928: D105002C 00000D2C
	v_mul_f32_e64 v45, v45, s6                                 // 000000006930: D105002D 00000D2D
	v_mul_f32_e64 v46, v46, s6                                 // 000000006938: D105002E 00000D2E
	v_mul_f32_e64 v47, v47, s6                                 // 000000006940: D105002F 00000D2F
	v_exp_f32_e32 v44, v44                                     // 000000006948: 7E58412C
	v_exp_f32_e32 v45, v45                                     // 00000000694C: 7E5A412D
	v_exp_f32_e32 v46, v46                                     // 000000006950: 7E5C412E
	v_exp_f32_e32 v47, v47                                     // 000000006954: 7E5E412F
	buffer_load_dwordx4 a[4:7], v36, s[12:15], 0 offen         // 000000006958: E05C1000 80830424
	v_add_f32_e64 v44, v44, 1.0                                // 000000006960: D101002C 0001E52C
	v_add_f32_e64 v45, v45, 1.0                                // 000000006968: D101002D 0001E52D
	v_add_f32_e64 v46, v46, 1.0                                // 000000006970: D101002E 0001E52E
	v_add_f32_e64 v47, v47, 1.0                                // 000000006978: D101002F 0001E52F
	v_rcp_f32_e32 v44, v44                                     // 000000006980: 7E58452C
	v_rcp_f32_e32 v45, v45                                     // 000000006984: 7E5A452D
	v_rcp_f32_e32 v46, v46                                     // 000000006988: 7E5C452E
	v_rcp_f32_e32 v47, v47                                     // 00000000698C: 7E5E452F
	v_mul_f32_e32 v128, v128, v44                              // 000000006990: 0B005980
	v_mul_f32_e32 v129, v129, v45                              // 000000006994: 0B025B81
	v_mul_f32_e32 v130, v130, v46                              // 000000006998: 0B045D82
	v_mul_f32_e32 v131, v131, v47                              // 00000000699C: 0B065F83
	v_mul_f32_e32 v128, v128, v64                              // 0000000069A0: 0B008180
	v_mul_f32_e32 v129, v129, v65                              // 0000000069A4: 0B028381
	v_mul_f32_e32 v130, v130, v66                              // 0000000069A8: 0B048582
	v_mul_f32_e32 v131, v131, v67                              // 0000000069AC: 0B068783
	buffer_load_dwordx4 a[8:11], v37, s[12:15], 0 offen        // 0000000069B0: E05C1000 80830825
	v_mul_f32_e32 v44, v132, v132                              // 0000000069B8: 0A590984
	v_mul_f32_e32 v45, v133, v133                              // 0000000069BC: 0A5B0B85
	v_mul_f32_e32 v46, v134, v134                              // 0000000069C0: 0A5D0D86
	v_mul_f32_e32 v47, v135, v135                              // 0000000069C4: 0A5F0F87
	v_fma_f32 v44, v44, s77, v1                                // 0000000069C8: D1CB002C 04049B2C
	v_fma_f32 v45, v45, s77, v1                                // 0000000069D0: D1CB002D 04049B2D
	v_fma_f32 v46, v46, s77, v1                                // 0000000069D8: D1CB002E 04049B2E
	v_fma_f32 v47, v47, s77, v1                                // 0000000069E0: D1CB002F 04049B2F
	v_mul_f32_e32 v44, v44, v132                               // 0000000069E8: 0A59092C
	v_mul_f32_e32 v45, v45, v133                               // 0000000069EC: 0A5B0B2D
	v_mul_f32_e32 v46, v46, v134                               // 0000000069F0: 0A5D0D2E
	v_mul_f32_e32 v47, v47, v135                               // 0000000069F4: 0A5F0F2F
	v_mul_f32_e64 v44, v44, s6                                 // 0000000069F8: D105002C 00000D2C
	v_mul_f32_e64 v45, v45, s6                                 // 000000006A00: D105002D 00000D2D
	v_mul_f32_e64 v46, v46, s6                                 // 000000006A08: D105002E 00000D2E
	v_mul_f32_e64 v47, v47, s6                                 // 000000006A10: D105002F 00000D2F
	v_exp_f32_e32 v44, v44                                     // 000000006A18: 7E58412C
	v_exp_f32_e32 v45, v45                                     // 000000006A1C: 7E5A412D
	v_exp_f32_e32 v46, v46                                     // 000000006A20: 7E5C412E
	v_exp_f32_e32 v47, v47                                     // 000000006A24: 7E5E412F
	buffer_load_dwordx4 a[12:15], v38, s[12:15], 0 offen       // 000000006A28: E05C1000 80830C26
	s_add_u32 s12, s78, s12                                    // 000000006A30: 800C0C4E
	s_addc_u32 s13, 0, s13                                     // 000000006A34: 820D0D80
	v_add_f32_e64 v44, v44, 1.0                                // 000000006A38: D101002C 0001E52C
	v_add_f32_e64 v45, v45, 1.0                                // 000000006A40: D101002D 0001E52D
	v_add_f32_e64 v46, v46, 1.0                                // 000000006A48: D101002E 0001E52E
	v_add_f32_e64 v47, v47, 1.0                                // 000000006A50: D101002F 0001E52F
	v_rcp_f32_e32 v44, v44                                     // 000000006A58: 7E58452C
	v_rcp_f32_e32 v45, v45                                     // 000000006A5C: 7E5A452D
	v_rcp_f32_e32 v46, v46                                     // 000000006A60: 7E5C452E
	v_rcp_f32_e32 v47, v47                                     // 000000006A64: 7E5E452F
	v_mul_f32_e32 v132, v132, v44                              // 000000006A68: 0B085984
	v_mul_f32_e32 v133, v133, v45                              // 000000006A6C: 0B0A5B85
	v_mul_f32_e32 v134, v134, v46                              // 000000006A70: 0B0C5D86
	v_mul_f32_e32 v135, v135, v47                              // 000000006A74: 0B0E5F87
	v_mul_f32_e32 v132, v132, v68                              // 000000006A78: 0B088984
	v_mul_f32_e32 v133, v133, v69                              // 000000006A7C: 0B0A8B85
	v_mul_f32_e32 v134, v134, v70                              // 000000006A80: 0B0C8D86
	v_mul_f32_e32 v135, v135, v71                              // 000000006A84: 0B0E8F87
	s_waitcnt vmcnt(8)                                         // 000000006A88: BF8C0F78
	buffer_load_dwordx4 a[16:19], v35, s[12:15], 0 offen       // 000000006A8C: E05C1000 80831023
	v_mul_f32_e32 v44, v136, v136                              // 000000006A94: 0A591188
	v_mul_f32_e32 v45, v137, v137                              // 000000006A98: 0A5B1389
	v_mul_f32_e32 v46, v138, v138                              // 000000006A9C: 0A5D158A
	v_mul_f32_e32 v47, v139, v139                              // 000000006AA0: 0A5F178B
	v_fma_f32 v44, v44, s77, v1                                // 000000006AA4: D1CB002C 04049B2C
	v_fma_f32 v45, v45, s77, v1                                // 000000006AAC: D1CB002D 04049B2D
	v_fma_f32 v46, v46, s77, v1                                // 000000006AB4: D1CB002E 04049B2E
	v_fma_f32 v47, v47, s77, v1                                // 000000006ABC: D1CB002F 04049B2F
	v_mul_f32_e32 v44, v44, v136                               // 000000006AC4: 0A59112C
	v_mul_f32_e32 v45, v45, v137                               // 000000006AC8: 0A5B132D
	v_mul_f32_e32 v46, v46, v138                               // 000000006ACC: 0A5D152E
	v_mul_f32_e32 v47, v47, v139                               // 000000006AD0: 0A5F172F
	v_mul_f32_e64 v44, v44, s6                                 // 000000006AD4: D105002C 00000D2C
	v_mul_f32_e64 v45, v45, s6                                 // 000000006ADC: D105002D 00000D2D
	v_mul_f32_e64 v46, v46, s6                                 // 000000006AE4: D105002E 00000D2E
	v_mul_f32_e64 v47, v47, s6                                 // 000000006AEC: D105002F 00000D2F
	v_exp_f32_e32 v44, v44                                     // 000000006AF4: 7E58412C
	v_exp_f32_e32 v45, v45                                     // 000000006AF8: 7E5A412D
	v_exp_f32_e32 v46, v46                                     // 000000006AFC: 7E5C412E
	v_exp_f32_e32 v47, v47                                     // 000000006B00: 7E5E412F
	buffer_load_dwordx4 a[20:23], v36, s[12:15], 0 offen       // 000000006B04: E05C1000 80831424
	v_add_f32_e64 v44, v44, 1.0                                // 000000006B0C: D101002C 0001E52C
	v_add_f32_e64 v45, v45, 1.0                                // 000000006B14: D101002D 0001E52D
	v_add_f32_e64 v46, v46, 1.0                                // 000000006B1C: D101002E 0001E52E
	v_add_f32_e64 v47, v47, 1.0                                // 000000006B24: D101002F 0001E52F
	v_rcp_f32_e32 v44, v44                                     // 000000006B2C: 7E58452C
	v_rcp_f32_e32 v45, v45                                     // 000000006B30: 7E5A452D
	v_rcp_f32_e32 v46, v46                                     // 000000006B34: 7E5C452E
	v_rcp_f32_e32 v47, v47                                     // 000000006B38: 7E5E452F
	v_mul_f32_e32 v136, v136, v44                              // 000000006B3C: 0B105988
	v_mul_f32_e32 v137, v137, v45                              // 000000006B40: 0B125B89
	v_mul_f32_e32 v138, v138, v46                              // 000000006B44: 0B145D8A
	v_mul_f32_e32 v139, v139, v47                              // 000000006B48: 0B165F8B
	v_mul_f32_e32 v136, v136, v72                              // 000000006B4C: 0B109188
	v_mul_f32_e32 v137, v137, v73                              // 000000006B50: 0B129389
	v_mul_f32_e32 v138, v138, v74                              // 000000006B54: 0B14958A
	v_mul_f32_e32 v139, v139, v75                              // 000000006B58: 0B16978B
	buffer_load_dwordx4 a[24:27], v37, s[12:15], 0 offen       // 000000006B5C: E05C1000 80831825
	v_mul_f32_e32 v44, v140, v140                              // 000000006B64: 0A59198C
	v_mul_f32_e32 v45, v141, v141                              // 000000006B68: 0A5B1B8D
	v_mul_f32_e32 v46, v142, v142                              // 000000006B6C: 0A5D1D8E
	v_mul_f32_e32 v47, v143, v143                              // 000000006B70: 0A5F1F8F
	v_fma_f32 v44, v44, s77, v1                                // 000000006B74: D1CB002C 04049B2C
	v_fma_f32 v45, v45, s77, v1                                // 000000006B7C: D1CB002D 04049B2D
	v_fma_f32 v46, v46, s77, v1                                // 000000006B84: D1CB002E 04049B2E
	v_fma_f32 v47, v47, s77, v1                                // 000000006B8C: D1CB002F 04049B2F
	v_mul_f32_e32 v44, v44, v140                               // 000000006B94: 0A59192C
	v_mul_f32_e32 v45, v45, v141                               // 000000006B98: 0A5B1B2D
	v_mul_f32_e32 v46, v46, v142                               // 000000006B9C: 0A5D1D2E
	v_mul_f32_e32 v47, v47, v143                               // 000000006BA0: 0A5F1F2F
	v_mul_f32_e64 v44, v44, s6                                 // 000000006BA4: D105002C 00000D2C
	v_mul_f32_e64 v45, v45, s6                                 // 000000006BAC: D105002D 00000D2D
	v_mul_f32_e64 v46, v46, s6                                 // 000000006BB4: D105002E 00000D2E
	v_mul_f32_e64 v47, v47, s6                                 // 000000006BBC: D105002F 00000D2F
	v_exp_f32_e32 v44, v44                                     // 000000006BC4: 7E58412C
	v_exp_f32_e32 v45, v45                                     // 000000006BC8: 7E5A412D
	v_exp_f32_e32 v46, v46                                     // 000000006BCC: 7E5C412E
	v_exp_f32_e32 v47, v47                                     // 000000006BD0: 7E5E412F
	buffer_load_dwordx4 a[28:31], v38, s[12:15], 0 offen       // 000000006BD4: E05C1000 80831C26
	s_add_u32 s12, s78, s12                                    // 000000006BDC: 800C0C4E
	s_addc_u32 s13, 0, s13                                     // 000000006BE0: 820D0D80
	v_add_f32_e64 v44, v44, 1.0                                // 000000006BE4: D101002C 0001E52C
	v_add_f32_e64 v45, v45, 1.0                                // 000000006BEC: D101002D 0001E52D
	v_add_f32_e64 v46, v46, 1.0                                // 000000006BF4: D101002E 0001E52E
	v_add_f32_e64 v47, v47, 1.0                                // 000000006BFC: D101002F 0001E52F
	v_rcp_f32_e32 v44, v44                                     // 000000006C04: 7E58452C
	v_rcp_f32_e32 v45, v45                                     // 000000006C08: 7E5A452D
	v_rcp_f32_e32 v46, v46                                     // 000000006C0C: 7E5C452E
	v_rcp_f32_e32 v47, v47                                     // 000000006C10: 7E5E452F
	v_mul_f32_e32 v140, v140, v44                              // 000000006C14: 0B18598C
	v_mul_f32_e32 v141, v141, v45                              // 000000006C18: 0B1A5B8D
	v_mul_f32_e32 v142, v142, v46                              // 000000006C1C: 0B1C5D8E
	v_mul_f32_e32 v143, v143, v47                              // 000000006C20: 0B1E5F8F
	v_mul_f32_e32 v140, v140, v76                              // 000000006C24: 0B18998C
	v_mul_f32_e32 v141, v141, v77                              // 000000006C28: 0B1A9B8D
	v_mul_f32_e32 v142, v142, v78                              // 000000006C2C: 0B1C9D8E
	v_mul_f32_e32 v143, v143, v79                              // 000000006C30: 0B1E9F8F
	s_waitcnt vmcnt(8)                                         // 000000006C34: BF8C0F78
	buffer_load_dwordx4 a[32:35], v35, s[12:15], 0 offen       // 000000006C38: E05C1000 80832023
	v_mul_f32_e32 v44, v144, v144                              // 000000006C40: 0A592190
	v_mul_f32_e32 v45, v145, v145                              // 000000006C44: 0A5B2391
	v_mul_f32_e32 v46, v146, v146                              // 000000006C48: 0A5D2592
	v_mul_f32_e32 v47, v147, v147                              // 000000006C4C: 0A5F2793
	v_fma_f32 v44, v44, s77, v1                                // 000000006C50: D1CB002C 04049B2C
	v_fma_f32 v45, v45, s77, v1                                // 000000006C58: D1CB002D 04049B2D
	v_fma_f32 v46, v46, s77, v1                                // 000000006C60: D1CB002E 04049B2E
	v_fma_f32 v47, v47, s77, v1                                // 000000006C68: D1CB002F 04049B2F
	v_mul_f32_e32 v44, v44, v144                               // 000000006C70: 0A59212C
	v_mul_f32_e32 v45, v45, v145                               // 000000006C74: 0A5B232D
	v_mul_f32_e32 v46, v46, v146                               // 000000006C78: 0A5D252E
	v_mul_f32_e32 v47, v47, v147                               // 000000006C7C: 0A5F272F
	v_mul_f32_e64 v44, v44, s6                                 // 000000006C80: D105002C 00000D2C
	v_mul_f32_e64 v45, v45, s6                                 // 000000006C88: D105002D 00000D2D
	v_mul_f32_e64 v46, v46, s6                                 // 000000006C90: D105002E 00000D2E
	v_mul_f32_e64 v47, v47, s6                                 // 000000006C98: D105002F 00000D2F
	v_exp_f32_e32 v44, v44                                     // 000000006CA0: 7E58412C
	v_exp_f32_e32 v45, v45                                     // 000000006CA4: 7E5A412D
	v_exp_f32_e32 v46, v46                                     // 000000006CA8: 7E5C412E
	v_exp_f32_e32 v47, v47                                     // 000000006CAC: 7E5E412F
	buffer_load_dwordx4 a[36:39], v36, s[12:15], 0 offen       // 000000006CB0: E05C1000 80832424
	v_add_f32_e64 v44, v44, 1.0                                // 000000006CB8: D101002C 0001E52C
	v_add_f32_e64 v45, v45, 1.0                                // 000000006CC0: D101002D 0001E52D
	v_add_f32_e64 v46, v46, 1.0                                // 000000006CC8: D101002E 0001E52E
	v_add_f32_e64 v47, v47, 1.0                                // 000000006CD0: D101002F 0001E52F
	v_rcp_f32_e32 v44, v44                                     // 000000006CD8: 7E58452C
	v_rcp_f32_e32 v45, v45                                     // 000000006CDC: 7E5A452D
	v_rcp_f32_e32 v46, v46                                     // 000000006CE0: 7E5C452E
	v_rcp_f32_e32 v47, v47                                     // 000000006CE4: 7E5E452F
	v_mul_f32_e32 v144, v144, v44                              // 000000006CE8: 0B205990
	v_mul_f32_e32 v145, v145, v45                              // 000000006CEC: 0B225B91
	v_mul_f32_e32 v146, v146, v46                              // 000000006CF0: 0B245D92
	v_mul_f32_e32 v147, v147, v47                              // 000000006CF4: 0B265F93
	v_mul_f32_e32 v144, v144, v80                              // 000000006CF8: 0B20A190
	v_mul_f32_e32 v145, v145, v81                              // 000000006CFC: 0B22A391
	v_mul_f32_e32 v146, v146, v82                              // 000000006D00: 0B24A592
	v_mul_f32_e32 v147, v147, v83                              // 000000006D04: 0B26A793
	buffer_load_dwordx4 a[40:43], v37, s[12:15], 0 offen       // 000000006D08: E05C1000 80832825
	v_mul_f32_e32 v44, v148, v148                              // 000000006D10: 0A592994
	v_mul_f32_e32 v45, v149, v149                              // 000000006D14: 0A5B2B95
	v_mul_f32_e32 v46, v150, v150                              // 000000006D18: 0A5D2D96
	v_mul_f32_e32 v47, v151, v151                              // 000000006D1C: 0A5F2F97
	v_fma_f32 v44, v44, s77, v1                                // 000000006D20: D1CB002C 04049B2C
	v_fma_f32 v45, v45, s77, v1                                // 000000006D28: D1CB002D 04049B2D
	v_fma_f32 v46, v46, s77, v1                                // 000000006D30: D1CB002E 04049B2E
	v_fma_f32 v47, v47, s77, v1                                // 000000006D38: D1CB002F 04049B2F
	v_mul_f32_e32 v44, v44, v148                               // 000000006D40: 0A59292C
	v_mul_f32_e32 v45, v45, v149                               // 000000006D44: 0A5B2B2D
	v_mul_f32_e32 v46, v46, v150                               // 000000006D48: 0A5D2D2E
	v_mul_f32_e32 v47, v47, v151                               // 000000006D4C: 0A5F2F2F
	v_mul_f32_e64 v44, v44, s6                                 // 000000006D50: D105002C 00000D2C
	v_mul_f32_e64 v45, v45, s6                                 // 000000006D58: D105002D 00000D2D
	v_mul_f32_e64 v46, v46, s6                                 // 000000006D60: D105002E 00000D2E
	v_mul_f32_e64 v47, v47, s6                                 // 000000006D68: D105002F 00000D2F
	v_exp_f32_e32 v44, v44                                     // 000000006D70: 7E58412C
	v_exp_f32_e32 v45, v45                                     // 000000006D74: 7E5A412D
	v_exp_f32_e32 v46, v46                                     // 000000006D78: 7E5C412E
	v_exp_f32_e32 v47, v47                                     // 000000006D7C: 7E5E412F
	buffer_load_dwordx4 a[44:47], v38, s[12:15], 0 offen       // 000000006D80: E05C1000 80832C26
	v_add_f32_e64 v44, v44, 1.0                                // 000000006D88: D101002C 0001E52C
	v_add_f32_e64 v45, v45, 1.0                                // 000000006D90: D101002D 0001E52D
	v_add_f32_e64 v46, v46, 1.0                                // 000000006D98: D101002E 0001E52E
	v_add_f32_e64 v47, v47, 1.0                                // 000000006DA0: D101002F 0001E52F
	v_rcp_f32_e32 v44, v44                                     // 000000006DA8: 7E58452C
	v_rcp_f32_e32 v45, v45                                     // 000000006DAC: 7E5A452D
	v_rcp_f32_e32 v46, v46                                     // 000000006DB0: 7E5C452E
	v_rcp_f32_e32 v47, v47                                     // 000000006DB4: 7E5E452F
	v_mul_f32_e32 v148, v148, v44                              // 000000006DB8: 0B285994
	v_mul_f32_e32 v149, v149, v45                              // 000000006DBC: 0B2A5B95
	v_mul_f32_e32 v150, v150, v46                              // 000000006DC0: 0B2C5D96
	v_mul_f32_e32 v151, v151, v47                              // 000000006DC4: 0B2E5F97
	v_mul_f32_e32 v148, v148, v84                              // 000000006DC8: 0B28A994
	v_mul_f32_e32 v149, v149, v85                              // 000000006DCC: 0B2AAB95
	v_mul_f32_e32 v150, v150, v86                              // 000000006DD0: 0B2CAD96
	v_mul_f32_e32 v151, v151, v87                              // 000000006DD4: 0B2EAF97
	v_lshlrev_b32_e32 v44, 2, v0                               // 000000006DD8: 24580082
	s_mul_i32 s60, s82, s71                                    // 000000006DDC: 923C4752
	v_add_u32_e64 v80, v44, s60                                // 000000006DE0: D1340050 0000792C
	v_mov_b32_e32 v81, 0                                       // 000000006DE8: 7EA20280
	s_mul_i32 s60, s83, s71                                    // 000000006DEC: 923C4753
	v_add_u32_e64 v82, v44, s60                                // 000000006DF0: D1340052 0000792C
	v_mov_b32_e32 v83, 0                                       // 000000006DF8: 7EA60280
	s_mul_i32 s60, s84, s71                                    // 000000006DFC: 923C4754
	v_add_u32_e64 v84, v44, s60                                // 000000006E00: D1340054 0000792C
	v_mov_b32_e32 v85, 0                                       // 000000006E08: 7EAA0280
	s_mul_i32 s60, s85, s71                                    // 000000006E0C: 923C4755
	v_add_u32_e64 v86, v44, s60                                // 000000006E10: D1340056 0000792C
	v_mov_b32_e32 v87, 0                                       // 000000006E18: 7EAE0280
	s_mul_i32 s60, s86, s71                                    // 000000006E1C: 923C4756
	v_add_u32_e64 v88, v44, s60                                // 000000006E20: D1340058 0000792C
	v_mov_b32_e32 v89, 0                                       // 000000006E28: 7EB20280
	s_mul_i32 s60, s87, s71                                    // 000000006E2C: 923C4757
	v_add_u32_e64 v90, v44, s60                                // 000000006E30: D134005A 0000792C
	v_mov_b32_e32 v91, 0                                       // 000000006E38: 7EB60280
	s_mul_i32 s60, s88, s71                                    // 000000006E3C: 923C4758
	v_add_u32_e64 v92, v44, s60                                // 000000006E40: D134005C 0000792C
	v_mov_b32_e32 v93, 0                                       // 000000006E48: 7EBA0280
	s_mul_i32 s60, s89, s71                                    // 000000006E4C: 923C4759
	v_add_u32_e64 v94, v44, s60                                // 000000006E50: D134005E 0000792C
	v_mov_b32_e32 v95, 0                                       // 000000006E58: 7EBE0280
	buffer_load_dword v11, v5, s[16:19], 0 offen               // 000000006E5C: E0501000 80040B05
	v_mov_b32_e32 v20, 0x358637bd                              // 000000006E64: 7E2802FF 358637BD
	v_mov_b32_e32 v21, 0x358637bd                              // 000000006E6C: 7E2A02FF 358637BD
	v_max3_f32 v20, |v128|, |v129|, v20                        // 000000006E74: D1D30314 04530380
	v_max3_f32 v20, |v130|, |v131|, v20                        // 000000006E7C: D1D30314 04530782
	v_max3_f32 v21, |v132|, |v133|, v21                        // 000000006E84: D1D30315 04570B84
	v_max3_f32 v21, |v134|, |v135|, v21                        // 000000006E8C: D1D30315 04570F86
	v_max3_f32 v20, |v136|, |v137|, v20                        // 000000006E94: D1D30314 04531388
	v_max3_f32 v20, |v138|, |v139|, v20                        // 000000006E9C: D1D30314 0453178A
	v_max3_f32 v21, |v140|, |v141|, v21                        // 000000006EA4: D1D30315 04571B8C
	v_max3_f32 v21, |v142|, |v143|, v21                        // 000000006EAC: D1D30315 04571F8E
	v_max3_f32 v20, |v144|, |v145|, v20                        // 000000006EB4: D1D30314 04532390
	v_max3_f32 v20, |v146|, |v147|, v20                        // 000000006EBC: D1D30314 04532792
	v_max3_f32 v21, |v148|, |v149|, v21                        // 000000006EC4: D1D30315 04572B94
	v_max3_f32 v21, |v150|, |v151|, v21                        // 000000006ECC: D1D30315 04572F96
	v_lshlrev_b32_e32 v44, 3, v0                               // 000000006ED4: 24580083
	s_mul_i32 s60, 0x200, s7                                   // 000000006ED8: 923C07FF 00000200
	v_add_u32_e32 v44, s60, v44                                // 000000006EE0: 6858583C
	ds_write_b64 v44, v[20:21] offset:16640                    // 000000006EE4: D89A4100 0000142C
	s_waitcnt lgkmcnt(0)                                       // 000000006EEC: BF8CC07F
	s_barrier                                                  // 000000006EF0: BF8A0000
	v_and_b32_e32 v44, 15, v0                                  // 000000006EF4: 2658008F
	v_lshlrev_b32_e32 v44, 3, v44                              // 000000006EF8: 24585883
	ds_read_b64 v[96:97], v44 offset:16640                     // 000000006EFC: D8EC4100 6000002C
	ds_read_b64 v[98:99], v44 offset:16768                     // 000000006F04: D8EC4180 6200002C
	ds_read_b64 v[100:101], v44 offset:16896                   // 000000006F0C: D8EC4200 6400002C
	ds_read_b64 v[102:103], v44 offset:17024                   // 000000006F14: D8EC4280 6600002C
	ds_read_b64 v[104:105], v44 offset:17152                   // 000000006F1C: D8EC4300 6800002C
	ds_read_b64 v[106:107], v44 offset:17280                   // 000000006F24: D8EC4380 6A00002C
	ds_read_b64 v[108:109], v44 offset:17408                   // 000000006F2C: D8EC4400 6C00002C
	ds_read_b64 v[110:111], v44 offset:17536                   // 000000006F34: D8EC4480 6E00002C
	ds_read_b64 v[112:113], v44 offset:17664                   // 000000006F3C: D8EC4500 7000002C
	ds_read_b64 v[114:115], v44 offset:17792                   // 000000006F44: D8EC4580 7200002C
	ds_read_b64 v[116:117], v44 offset:17920                   // 000000006F4C: D8EC4600 7400002C
	ds_read_b64 v[118:119], v44 offset:18048                   // 000000006F54: D8EC4680 7600002C
	ds_read_b64 v[120:121], v44 offset:18176                   // 000000006F5C: D8EC4700 7800002C
	ds_read_b64 v[122:123], v44 offset:18304                   // 000000006F64: D8EC4780 7A00002C
	ds_read_b64 v[124:125], v44 offset:18432                   // 000000006F6C: D8EC4800 7C00002C
	ds_read_b64 v[126:127], v44 offset:18560                   // 000000006F74: D8EC4880 7E00002C
	s_waitcnt lgkmcnt(0)                                       // 000000006F7C: BF8CC07F
	v_max3_f32 v20, |v96|, |v98|, v20                          // 000000006F80: D1D30314 0452C560
	v_max3_f32 v21, |v97|, |v99|, v21                          // 000000006F88: D1D30315 0456C761
	v_max3_f32 v20, |v100|, |v102|, v20                        // 000000006F90: D1D30314 0452CD64
	v_max3_f32 v21, |v101|, |v103|, v21                        // 000000006F98: D1D30315 0456CF65
	v_max3_f32 v20, |v104|, |v106|, v20                        // 000000006FA0: D1D30314 0452D568
	v_max3_f32 v21, |v105|, |v107|, v21                        // 000000006FA8: D1D30315 0456D769
	v_max3_f32 v20, |v108|, |v110|, v20                        // 000000006FB0: D1D30314 0452DD6C
	v_max3_f32 v21, |v109|, |v111|, v21                        // 000000006FB8: D1D30315 0456DF6D
	v_max3_f32 v20, |v112|, |v114|, v20                        // 000000006FC0: D1D30314 0452E570
	v_max3_f32 v21, |v113|, |v115|, v21                        // 000000006FC8: D1D30315 0456E771
	v_max3_f32 v20, |v116|, |v118|, v20                        // 000000006FD0: D1D30314 0452ED74
	v_max3_f32 v21, |v117|, |v119|, v21                        // 000000006FD8: D1D30315 0456EF75
	v_max3_f32 v20, |v120|, |v122|, v20                        // 000000006FE0: D1D30314 0452F578
	v_max3_f32 v21, |v121|, |v123|, v21                        // 000000006FE8: D1D30315 0456F779
	v_max3_f32 v20, |v124|, |v126|, v20                        // 000000006FF0: D1D30314 0452FD7C
	v_max3_f32 v21, |v125|, |v127|, v21                        // 000000006FF8: D1D30315 0456FF7D
	v_rcp_f32_e32 v20, v20                                     // 000000007000: 7E284514
	v_rcp_f32_e32 v21, v21                                     // 000000007004: 7E2A4515
	v_mov_b32_e32 v44, 0x43700000                              // 000000007008: 7E5802FF 43700000
	v_mul_f32_e32 v20, v44, v20                                // 000000007010: 0A28292C
	v_mul_f32_e32 v21, v44, v21                                // 000000007014: 0A2A2B2C
	v_mul_f32_e32 v128, v20, v128                              // 000000007018: 0B010114
	v_mul_f32_e32 v129, v20, v129                              // 00000000701C: 0B030314
	v_mul_f32_e32 v130, v20, v130                              // 000000007020: 0B050514
	v_mul_f32_e32 v131, v20, v131                              // 000000007024: 0B070714
	v_cvt_pk_fp8_f32 v128, v128, v129                          // 000000007028: D2A20080 00030380
	v_cvt_pk_fp8_f32 v128, v130, v131 op_sel:[0,0,1]           // 000000007030: D2A24080 00030782
	v_mul_f32_e32 v132, v21, v132                              // 000000007038: 0B090915
	v_mul_f32_e32 v133, v21, v133                              // 00000000703C: 0B0B0B15
	v_mul_f32_e32 v134, v21, v134                              // 000000007040: 0B0D0D15
	v_mul_f32_e32 v135, v21, v135                              // 000000007044: 0B0F0F15
	v_cvt_pk_fp8_f32 v129, v132, v133                          // 000000007048: D2A20081 00030B84
	v_cvt_pk_fp8_f32 v129, v134, v135 op_sel:[0,0,1]           // 000000007050: D2A24081 00030F86
	v_mul_f32_e32 v136, v20, v136                              // 000000007058: 0B111114
	v_mul_f32_e32 v137, v20, v137                              // 00000000705C: 0B131314
	v_mul_f32_e32 v138, v20, v138                              // 000000007060: 0B151514
	v_mul_f32_e32 v139, v20, v139                              // 000000007064: 0B171714
	v_cvt_pk_fp8_f32 v130, v136, v137                          // 000000007068: D2A20082 00031388
	v_cvt_pk_fp8_f32 v130, v138, v139 op_sel:[0,0,1]           // 000000007070: D2A24082 0003178A
	v_mul_f32_e32 v140, v21, v140                              // 000000007078: 0B191915
	v_mul_f32_e32 v141, v21, v141                              // 00000000707C: 0B1B1B15
	v_mul_f32_e32 v142, v21, v142                              // 000000007080: 0B1D1D15
	v_mul_f32_e32 v143, v21, v143                              // 000000007084: 0B1F1F15
	v_cvt_pk_fp8_f32 v131, v140, v141                          // 000000007088: D2A20083 00031B8C
	v_cvt_pk_fp8_f32 v131, v142, v143 op_sel:[0,0,1]           // 000000007090: D2A24083 00031F8E
	v_mul_f32_e32 v144, v20, v144                              // 000000007098: 0B212114
	v_mul_f32_e32 v145, v20, v145                              // 00000000709C: 0B232314
	v_mul_f32_e32 v146, v20, v146                              // 0000000070A0: 0B252514
	v_mul_f32_e32 v147, v20, v147                              // 0000000070A4: 0B272714
	v_cvt_pk_fp8_f32 v132, v144, v145                          // 0000000070A8: D2A20084 00032390
	v_cvt_pk_fp8_f32 v132, v146, v147 op_sel:[0,0,1]           // 0000000070B0: D2A24084 00032792
	v_mul_f32_e32 v148, v21, v148                              // 0000000070B8: 0B292915
	v_mul_f32_e32 v149, v21, v149                              // 0000000070BC: 0B2B2B15
	v_mul_f32_e32 v150, v21, v150                              // 0000000070C0: 0B2D2D15
	v_mul_f32_e32 v151, v21, v151                              // 0000000070C4: 0B2F2F15
	v_cvt_pk_fp8_f32 v133, v148, v149                          // 0000000070C8: D2A20085 00032B94
	v_cvt_pk_fp8_f32 v133, v150, v151 op_sel:[0,0,1]           // 0000000070D0: D2A24085 00032F96
	v_rcp_f32_e32 v22, v20                                     // 0000000070D8: 7E2C4514
	v_rcp_f32_e32 v23, v21                                     // 0000000070DC: 7E2E4515
	v_lshrrev_b32_e32 v44, 5, v0                               // 0000000070E0: 20580085
	v_lshlrev_b32_e32 v45, 5, v44                              // 0000000070E4: 245A5885
	v_and_b32_e32 v44, 31, v0                                  // 0000000070E8: 2658009F
	v_lshrrev_b32_e32 v46, 4, v44                              // 0000000070EC: 205C5884
	v_add_u32_e32 v45, v46, v45                                // 0000000070F0: 685A5B2E
	v_and_b32_e32 v44, 15, v0                                  // 0000000070F4: 2658008F
	v_lshlrev_b32_e32 v44, 1, v44                              // 0000000070F8: 24585881
	v_add_u32_e32 v45, v44, v45                                // 0000000070FC: 685A5B2C
	v_lshlrev_b32_e32 v44, 2, v45                              // 000000007100: 24585A82
	s_mul_i32 s60, 0x100, s7                                   // 000000007104: 923C07FF 00000100
	v_add_u32_e64 v44, v44, s60                                // 00000000710C: D134002C 0000792C
	ds_write_b32 v44, v128 offset:18688                        // 000000007114: D81A4900 0000802C
	ds_write_b32 v44, v129 offset:21760                        // 00000000711C: D81A5500 0000812C
	ds_write_b32 v44, v130 offset:19712                        // 000000007124: D81A4D00 0000822C
	ds_write_b32 v44, v131 offset:22784                        // 00000000712C: D81A5900 0000832C
	ds_write_b32 v44, v132 offset:20736                        // 000000007134: D81A5100 0000842C
	ds_write_b32 v44, v133 offset:23808                        // 00000000713C: D81A5D00 0000852C
	s_waitcnt lgkmcnt(0)                                       // 000000007144: BF8CC07F
	s_barrier                                                  // 000000007148: BF8A0000
	v_lshrrev_b32_e32 v44, 4, v0                               // 00000000714C: 20580084
	v_lshlrev_b32_e32 v45, 6, v44                              // 000000007150: 245A5886
	v_and_b32_e32 v44, 15, v0                                  // 000000007154: 2658008F
	v_lshlrev_b32_e32 v44, 1, v44                              // 000000007158: 24585881
	v_add_u32_e32 v45, v44, v45                                // 00000000715C: 685A5B2C
	v_lshlrev_b32_e32 v44, 2, v45                              // 000000007160: 24585A82
	ds_read_b64 v[128:129], v44 offset:18688                   // 000000007164: D8EC4900 8000002C
	ds_read_b64 v[130:131], v44 offset:18816                   // 00000000716C: D8EC4980 8200002C
	ds_read_b64 v[132:133], v44 offset:19712                   // 000000007174: D8EC4D00 8400002C
	ds_read_b64 v[134:135], v44 offset:19840                   // 00000000717C: D8EC4D80 8600002C
	ds_read_b64 v[136:137], v44 offset:20736                   // 000000007184: D8EC5100 8800002C
	ds_read_b64 v[138:139], v44 offset:20864                   // 00000000718C: D8EC5180 8A00002C
	ds_read_b64 v[140:141], v44 offset:21760                   // 000000007194: D8EC5500 8C00002C
	ds_read_b64 v[142:143], v44 offset:21888                   // 00000000719C: D8EC5580 8E00002C
	ds_read_b64 v[144:145], v44 offset:22784                   // 0000000071A4: D8EC5900 9000002C
	ds_read_b64 v[146:147], v44 offset:22912                   // 0000000071AC: D8EC5980 9200002C
	ds_read_b64 v[148:149], v44 offset:23808                   // 0000000071B4: D8EC5D00 9400002C
	ds_read_b64 v[150:151], v44 offset:23936                   // 0000000071BC: D8EC5D80 9600002C
	s_add_u32 s12, s56, s12                                    // 0000000071C4: 800C0C38
	s_addc_u32 s13, 0, s13                                     // 0000000071C8: 820D0D80
	s_add_u32 s16, s79, s16                                    // 0000000071CC: 8010104F
	s_addc_u32 s17, 0, s17                                     // 0000000071D0: 82111180
	s_mov_b32 s80, 0                                           // 0000000071D4: BED00080
	s_waitcnt vmcnt(0) expcnt(0) lgkmcnt(0)                    // 0000000071D8: BF8C0000

00000000000071dc <label_11B7>:
	s_waitcnt vmcnt(25)                                        // 0000000071DC: BF8C4F79
	s_barrier                                                  // 0000000071E0: BF8A0000
	v_mfma_f32_16x16x32_fp8_fp8 v[152:155], a[0:1], v[128:129], 0// 0000000071E4: D3F30098 0A030100
	buffer_load_dwordx4 a[48:51], v35, s[12:15], 0 offen       // 0000000071EC: E05C1000 80833023
	v_mfma_f32_16x16x32_fp8_fp8 v[152:155], a[2:3], v[130:131], v[152:155]// 0000000071F4: D3F30098 0E630502
	v_mfma_f32_16x16x32_fp8_fp8 v[156:159], a[0:1], v[140:141], 0// 0000000071FC: D3F3009C 0A031900
	v_mfma_f32_16x16x32_fp8_fp8 v[156:159], a[2:3], v[142:143], v[156:159]// 000000007204: D3F3009C 0E731D02
	v_mfma_f32_16x16x32_fp8_fp8 v[160:163], a[4:5], v[128:129], 0// 00000000720C: D3F300A0 0A030104
	buffer_load_dwordx4 a[52:55], v36, s[12:15], 0 offen       // 000000007214: E05C1000 80833424
	v_mfma_f32_16x16x32_fp8_fp8 v[160:163], a[6:7], v[130:131], v[160:163]// 00000000721C: D3F300A0 0E830506
	v_mfma_f32_16x16x32_fp8_fp8 v[164:167], a[4:5], v[140:141], 0// 000000007224: D3F300A4 0A031904
	v_mfma_f32_16x16x32_fp8_fp8 v[164:167], a[6:7], v[142:143], v[164:167]// 00000000722C: D3F300A4 0E931D06
	v_mfma_f32_16x16x32_fp8_fp8 v[168:171], a[8:9], v[128:129], 0// 000000007234: D3F300A8 0A030108
	buffer_load_dwordx4 a[56:59], v37, s[12:15], 0 offen       // 00000000723C: E05C1000 80833825
	v_mfma_f32_16x16x32_fp8_fp8 v[168:171], a[10:11], v[130:131], v[168:171]// 000000007244: D3F300A8 0EA3050A
	v_mfma_f32_16x16x32_fp8_fp8 v[172:175], a[8:9], v[140:141], 0// 00000000724C: D3F300AC 0A031908
	v_mfma_f32_16x16x32_fp8_fp8 v[172:175], a[10:11], v[142:143], v[172:175]// 000000007254: D3F300AC 0EB31D0A
	v_mfma_f32_16x16x32_fp8_fp8 v[176:179], a[12:13], v[128:129], 0// 00000000725C: D3F300B0 0A03010C
	buffer_load_dwordx4 a[60:63], v38, s[12:15], 0 offen       // 000000007264: E05C1000 80833C26
	s_add_u32 s12, s78, s12                                    // 00000000726C: 800C0C4E
	s_addc_u32 s13, 0, s13                                     // 000000007270: 820D0D80
	v_mfma_f32_16x16x32_fp8_fp8 v[176:179], a[14:15], v[130:131], v[176:179]// 000000007274: D3F300B0 0EC3050E
	v_mfma_f32_16x16x32_fp8_fp8 v[180:183], a[12:13], v[140:141], 0// 00000000727C: D3F300B4 0A03190C
	v_mfma_f32_16x16x32_fp8_fp8 v[180:183], a[14:15], v[142:143], v[180:183]// 000000007284: D3F300B4 0ED31D0E
	s_waitcnt vmcnt(25)                                        // 00000000728C: BF8C4F79
	v_mfma_f32_16x16x32_fp8_fp8 v[152:155], a[16:17], v[132:133], v[152:155]// 000000007290: D3F30098 0E630910
	buffer_load_dwordx4 a[64:67], v35, s[12:15], 0 offen       // 000000007298: E05C1000 80834023
	v_mfma_f32_16x16x32_fp8_fp8 v[152:155], a[18:19], v[134:135], v[152:155]// 0000000072A0: D3F30098 0E630D12
	v_mfma_f32_16x16x32_fp8_fp8 v[156:159], a[16:17], v[144:145], v[156:159]// 0000000072A8: D3F3009C 0E732110
	v_mfma_f32_16x16x32_fp8_fp8 v[156:159], a[18:19], v[146:147], v[156:159]// 0000000072B0: D3F3009C 0E732512
	v_mfma_f32_16x16x32_fp8_fp8 v[160:163], a[20:21], v[132:133], v[160:163]// 0000000072B8: D3F300A0 0E830914
	buffer_load_dwordx4 a[68:71], v36, s[12:15], 0 offen       // 0000000072C0: E05C1000 80834424
	v_mfma_f32_16x16x32_fp8_fp8 v[160:163], a[22:23], v[134:135], v[160:163]// 0000000072C8: D3F300A0 0E830D16
	v_mfma_f32_16x16x32_fp8_fp8 v[164:167], a[20:21], v[144:145], v[164:167]// 0000000072D0: D3F300A4 0E932114
	v_mfma_f32_16x16x32_fp8_fp8 v[164:167], a[22:23], v[146:147], v[164:167]// 0000000072D8: D3F300A4 0E932516
	v_mfma_f32_16x16x32_fp8_fp8 v[168:171], a[24:25], v[132:133], v[168:171]// 0000000072E0: D3F300A8 0EA30918
	buffer_load_dwordx4 a[72:75], v37, s[12:15], 0 offen       // 0000000072E8: E05C1000 80834825
	v_mfma_f32_16x16x32_fp8_fp8 v[168:171], a[26:27], v[134:135], v[168:171]// 0000000072F0: D3F300A8 0EA30D1A
	v_mfma_f32_16x16x32_fp8_fp8 v[172:175], a[24:25], v[144:145], v[172:175]// 0000000072F8: D3F300AC 0EB32118
	v_mfma_f32_16x16x32_fp8_fp8 v[172:175], a[26:27], v[146:147], v[172:175]// 000000007300: D3F300AC 0EB3251A
	v_mfma_f32_16x16x32_fp8_fp8 v[176:179], a[28:29], v[132:133], v[176:179]// 000000007308: D3F300B0 0EC3091C
	buffer_load_dwordx4 a[76:79], v38, s[12:15], 0 offen       // 000000007310: E05C1000 80834C26
	s_add_u32 s12, s78, s12                                    // 000000007318: 800C0C4E
	s_addc_u32 s13, 0, s13                                     // 00000000731C: 820D0D80
	v_mfma_f32_16x16x32_fp8_fp8 v[176:179], a[30:31], v[134:135], v[176:179]// 000000007320: D3F300B0 0EC30D1E
	v_mfma_f32_16x16x32_fp8_fp8 v[180:183], a[28:29], v[144:145], v[180:183]// 000000007328: D3F300B4 0ED3211C
	v_mfma_f32_16x16x32_fp8_fp8 v[180:183], a[30:31], v[146:147], v[180:183]// 000000007330: D3F300B4 0ED3251E
	s_waitcnt vmcnt(24)                                        // 000000007338: BF8C4F78
	v_mfma_f32_16x16x32_fp8_fp8 v[152:155], a[32:33], v[136:137], v[152:155]// 00000000733C: D3F30098 0E631120
	buffer_load_dwordx4 a[80:83], v35, s[12:15], 0 offen       // 000000007344: E05C1000 80835023
	v_mfma_f32_16x16x32_fp8_fp8 v[152:155], a[34:35], v[138:139], v[152:155]// 00000000734C: D3F30098 0E631522
	v_mfma_f32_16x16x32_fp8_fp8 v[156:159], a[32:33], v[148:149], v[156:159]// 000000007354: D3F3009C 0E732920
	buffer_load_dword v12, v5, s[16:19], 0 offen               // 00000000735C: E0501000 80040C05
	v_mfma_f32_16x16x32_fp8_fp8 v[156:159], a[34:35], v[150:151], v[156:159]// 000000007364: D3F3009C 0E732D22
	v_mfma_f32_16x16x32_fp8_fp8 v[160:163], a[36:37], v[136:137], v[160:163]// 00000000736C: D3F300A0 0E831124
	buffer_load_dwordx4 a[84:87], v36, s[12:15], 0 offen       // 000000007374: E05C1000 80835424
	v_mfma_f32_16x16x32_fp8_fp8 v[160:163], a[38:39], v[138:139], v[160:163]// 00000000737C: D3F300A0 0E831526
	v_mfma_f32_16x16x32_fp8_fp8 v[164:167], a[36:37], v[148:149], v[164:167]// 000000007384: D3F300A4 0E932924
	v_mfma_f32_16x16x32_fp8_fp8 v[164:167], a[38:39], v[150:151], v[164:167]// 00000000738C: D3F300A4 0E932D26
	v_mfma_f32_16x16x32_fp8_fp8 v[168:171], a[40:41], v[136:137], v[168:171]// 000000007394: D3F300A8 0EA31128
	buffer_load_dwordx4 a[88:91], v37, s[12:15], 0 offen       // 00000000739C: E05C1000 80835825
	v_mfma_f32_16x16x32_fp8_fp8 v[168:171], a[42:43], v[138:139], v[168:171]// 0000000073A4: D3F300A8 0EA3152A
	v_mfma_f32_16x16x32_fp8_fp8 v[172:175], a[40:41], v[148:149], v[172:175]// 0000000073AC: D3F300AC 0EB32928
	v_mfma_f32_16x16x32_fp8_fp8 v[172:175], a[42:43], v[150:151], v[172:175]// 0000000073B4: D3F300AC 0EB32D2A
	v_mfma_f32_16x16x32_fp8_fp8 v[176:179], a[44:45], v[136:137], v[176:179]// 0000000073BC: D3F300B0 0EC3112C
	buffer_load_dwordx4 a[92:95], v38, s[12:15], 0 offen       // 0000000073C4: E05C1000 80835C26
	v_mfma_f32_16x16x32_fp8_fp8 v[176:179], a[46:47], v[138:139], v[176:179]// 0000000073CC: D3F300B0 0EC3152E
	v_mfma_f32_16x16x32_fp8_fp8 v[180:183], a[44:45], v[148:149], v[180:183]// 0000000073D4: D3F300B4 0ED3292C
	v_mfma_f32_16x16x32_fp8_fp8 v[180:183], a[46:47], v[150:151], v[180:183]// 0000000073DC: D3F300B4 0ED32D2E
	s_add_u32 s60, 0x200, s80                                  // 0000000073E4: 803C50FF 00000200
	s_cmp_lt_u32 s60, s81                                      // 0000000073EC: BF0A513C
	s_cselect_b32 s56, s56, 0                                  // 0000000073F0: 85388038
	s_cselect_b32 s78, s78, 0                                  // 0000000073F4: 854E804E
	s_cselect_b32 s79, s79, 0                                  // 0000000073F8: 854F804F
	s_add_u32 s12, s56, s12                                    // 0000000073FC: 800C0C38
	s_addc_u32 s13, 0, s13                                     // 000000007400: 820D0D80
	s_add_u32 s16, s79, s16                                    // 000000007404: 8010104F
	s_addc_u32 s17, 0, s17                                     // 000000007408: 82111180
	v_mul_f32_e32 v152, v22, v152                              // 00000000740C: 0B313116
	v_mul_f32_e32 v153, v22, v153                              // 000000007410: 0B333316
	v_mul_f32_e32 v154, v22, v154                              // 000000007414: 0B353516
	v_mul_f32_e32 v155, v22, v155                              // 000000007418: 0B373716
	v_mul_f32_dpp v152, v11, v152 row_newbcast:0 row_mask:0xf bank_mask:0xf// 00000000741C: 0B3130FA FF01500B
	v_mul_f32_dpp v153, v11, v153 row_newbcast:1 row_mask:0xf bank_mask:0xf// 000000007424: 0B3332FA FF01510B
	v_mul_f32_dpp v154, v11, v154 row_newbcast:2 row_mask:0xf bank_mask:0xf// 00000000742C: 0B3534FA FF01520B
	v_mul_f32_dpp v155, v11, v155 row_newbcast:3 row_mask:0xf bank_mask:0xf// 000000007434: 0B3736FA FF01530B
	v_mul_f32_e32 v156, v23, v156                              // 00000000743C: 0B393917
	v_mul_f32_e32 v157, v23, v157                              // 000000007440: 0B3B3B17
	v_mul_f32_e32 v158, v23, v158                              // 000000007444: 0B3D3D17
	v_mul_f32_e32 v159, v23, v159                              // 000000007448: 0B3F3F17
	v_mul_f32_dpp v156, v11, v156 row_newbcast:0 row_mask:0xf bank_mask:0xf// 00000000744C: 0B3938FA FF01500B
	v_mul_f32_dpp v157, v11, v157 row_newbcast:1 row_mask:0xf bank_mask:0xf// 000000007454: 0B3B3AFA FF01510B
	v_mul_f32_dpp v158, v11, v158 row_newbcast:2 row_mask:0xf bank_mask:0xf// 00000000745C: 0B3D3CFA FF01520B
	v_mul_f32_dpp v159, v11, v159 row_newbcast:3 row_mask:0xf bank_mask:0xf// 000000007464: 0B3F3EFA FF01530B
	v_mul_f32_e32 v160, v22, v160                              // 00000000746C: 0B414116
	v_mul_f32_e32 v161, v22, v161                              // 000000007470: 0B434316
	v_mul_f32_e32 v162, v22, v162                              // 000000007474: 0B454516
	v_mul_f32_e32 v163, v22, v163                              // 000000007478: 0B474716
	v_mul_f32_dpp v160, v11, v160 row_newbcast:4 row_mask:0xf bank_mask:0xf// 00000000747C: 0B4140FA FF01540B
	v_mul_f32_dpp v161, v11, v161 row_newbcast:5 row_mask:0xf bank_mask:0xf// 000000007484: 0B4342FA FF01550B
	v_mul_f32_dpp v162, v11, v162 row_newbcast:6 row_mask:0xf bank_mask:0xf// 00000000748C: 0B4544FA FF01560B
	v_mul_f32_dpp v163, v11, v163 row_newbcast:7 row_mask:0xf bank_mask:0xf// 000000007494: 0B4746FA FF01570B
	v_mul_f32_e32 v164, v23, v164                              // 00000000749C: 0B494917
	v_mul_f32_e32 v165, v23, v165                              // 0000000074A0: 0B4B4B17
	v_mul_f32_e32 v166, v23, v166                              // 0000000074A4: 0B4D4D17
	v_mul_f32_e32 v167, v23, v167                              // 0000000074A8: 0B4F4F17
	v_mul_f32_dpp v164, v11, v164 row_newbcast:4 row_mask:0xf bank_mask:0xf// 0000000074AC: 0B4948FA FF01540B
	v_mul_f32_dpp v165, v11, v165 row_newbcast:5 row_mask:0xf bank_mask:0xf// 0000000074B4: 0B4B4AFA FF01550B
	v_mul_f32_dpp v166, v11, v166 row_newbcast:6 row_mask:0xf bank_mask:0xf// 0000000074BC: 0B4D4CFA FF01560B
	v_mul_f32_dpp v167, v11, v167 row_newbcast:7 row_mask:0xf bank_mask:0xf// 0000000074C4: 0B4F4EFA FF01570B
	v_mul_f32_e32 v168, v22, v168                              // 0000000074CC: 0B515116
	v_mul_f32_e32 v169, v22, v169                              // 0000000074D0: 0B535316
	v_mul_f32_e32 v170, v22, v170                              // 0000000074D4: 0B555516
	v_mul_f32_e32 v171, v22, v171                              // 0000000074D8: 0B575716
	v_mul_f32_dpp v168, v11, v168 row_newbcast:8 row_mask:0xf bank_mask:0xf// 0000000074DC: 0B5150FA FF01580B
	v_mul_f32_dpp v169, v11, v169 row_newbcast:9 row_mask:0xf bank_mask:0xf// 0000000074E4: 0B5352FA FF01590B
	v_mul_f32_dpp v170, v11, v170 row_newbcast:10 row_mask:0xf bank_mask:0xf// 0000000074EC: 0B5554FA FF015A0B
	v_mul_f32_dpp v171, v11, v171 row_newbcast:11 row_mask:0xf bank_mask:0xf// 0000000074F4: 0B5756FA FF015B0B
	v_mul_f32_e32 v172, v23, v172                              // 0000000074FC: 0B595917
	v_mul_f32_e32 v173, v23, v173                              // 000000007500: 0B5B5B17
	v_mul_f32_e32 v174, v23, v174                              // 000000007504: 0B5D5D17
	v_mul_f32_e32 v175, v23, v175                              // 000000007508: 0B5F5F17
	v_mul_f32_dpp v172, v11, v172 row_newbcast:8 row_mask:0xf bank_mask:0xf// 00000000750C: 0B5958FA FF01580B
	v_mul_f32_dpp v173, v11, v173 row_newbcast:9 row_mask:0xf bank_mask:0xf// 000000007514: 0B5B5AFA FF01590B
	v_mul_f32_dpp v174, v11, v174 row_newbcast:10 row_mask:0xf bank_mask:0xf// 00000000751C: 0B5D5CFA FF015A0B
	v_mul_f32_dpp v175, v11, v175 row_newbcast:11 row_mask:0xf bank_mask:0xf// 000000007524: 0B5F5EFA FF015B0B
	v_mul_f32_e32 v176, v22, v176                              // 00000000752C: 0B616116
	v_mul_f32_e32 v177, v22, v177                              // 000000007530: 0B636316
	v_mul_f32_e32 v178, v22, v178                              // 000000007534: 0B656516
	v_mul_f32_e32 v179, v22, v179                              // 000000007538: 0B676716
	v_mul_f32_dpp v176, v11, v176 row_newbcast:12 row_mask:0xf bank_mask:0xf// 00000000753C: 0B6160FA FF015C0B
	v_mul_f32_dpp v177, v11, v177 row_newbcast:13 row_mask:0xf bank_mask:0xf// 000000007544: 0B6362FA FF015D0B
	v_mul_f32_dpp v178, v11, v178 row_newbcast:14 row_mask:0xf bank_mask:0xf// 00000000754C: 0B6564FA FF015E0B
	v_mul_f32_dpp v179, v11, v179 row_newbcast:15 row_mask:0xf bank_mask:0xf// 000000007554: 0B6766FA FF015F0B
	v_mul_f32_e32 v180, v23, v180                              // 00000000755C: 0B696917
	v_mul_f32_e32 v181, v23, v181                              // 000000007560: 0B6B6B17
	v_mul_f32_e32 v182, v23, v182                              // 000000007564: 0B6D6D17
	v_mul_f32_e32 v183, v23, v183                              // 000000007568: 0B6F6F17
	v_mul_f32_dpp v180, v11, v180 row_newbcast:12 row_mask:0xf bank_mask:0xf// 00000000756C: 0B6968FA FF015C0B
	v_mul_f32_dpp v181, v11, v181 row_newbcast:13 row_mask:0xf bank_mask:0xf// 000000007574: 0B6B6AFA FF015D0B
	v_mul_f32_dpp v182, v11, v182 row_newbcast:14 row_mask:0xf bank_mask:0xf// 00000000757C: 0B6D6CFA FF015E0B
	v_mul_f32_dpp v183, v11, v183 row_newbcast:15 row_mask:0xf bank_mask:0xf// 000000007584: 0B6F6EFA FF015F0B
	v_cmp_u_f32_e64 s[48:49], v152, v152                       // 00000000758C: D0480030 00033198
	v_add3_u32 v39, v152, v42, 1                               // 000000007594: D1FF0027 02065598
	v_cndmask_b32_e64 v44, v39, v41, s[48:49]                  // 00000000759C: D100002C 00C25327
	v_cmp_u_f32_e64 s[48:49], v153, v153                       // 0000000075A4: D0480030 00033399
	v_add3_u32 v39, v153, v42, 1                               // 0000000075AC: D1FF0027 02065599
	v_cndmask_b32_e64 v45, v39, v41, s[48:49]                  // 0000000075B4: D100002D 00C25327
	v_perm_b32 v152, v45, v44, s52                             // 0000000075BC: D1ED0098 00D2592D
	v_cmp_u_f32_e64 s[48:49], v154, v154                       // 0000000075C4: D0480030 0003359A
	v_add3_u32 v39, v154, v42, 1                               // 0000000075CC: D1FF0027 0206559A
	v_cndmask_b32_e64 v44, v39, v41, s[48:49]                  // 0000000075D4: D100002C 00C25327
	v_cmp_u_f32_e64 s[48:49], v155, v155                       // 0000000075DC: D0480030 0003379B
	v_add3_u32 v39, v155, v42, 1                               // 0000000075E4: D1FF0027 0206559B
	v_cndmask_b32_e64 v45, v39, v41, s[48:49]                  // 0000000075EC: D100002D 00C25327
	v_perm_b32 v153, v45, v44, s52                             // 0000000075F4: D1ED0099 00D2592D
	v_cmp_u_f32_e64 s[48:49], v156, v156                       // 0000000075FC: D0480030 0003399C
	v_add3_u32 v39, v156, v42, 1                               // 000000007604: D1FF0027 0206559C
	v_cndmask_b32_e64 v44, v39, v41, s[48:49]                  // 00000000760C: D100002C 00C25327
	v_cmp_u_f32_e64 s[48:49], v157, v157                       // 000000007614: D0480030 00033B9D
	v_add3_u32 v39, v157, v42, 1                               // 00000000761C: D1FF0027 0206559D
	v_cndmask_b32_e64 v45, v39, v41, s[48:49]                  // 000000007624: D100002D 00C25327
	v_perm_b32 v154, v45, v44, s52                             // 00000000762C: D1ED009A 00D2592D
	v_cmp_u_f32_e64 s[48:49], v158, v158                       // 000000007634: D0480030 00033D9E
	v_add3_u32 v39, v158, v42, 1                               // 00000000763C: D1FF0027 0206559E
	v_cndmask_b32_e64 v44, v39, v41, s[48:49]                  // 000000007644: D100002C 00C25327
	v_cmp_u_f32_e64 s[48:49], v159, v159                       // 00000000764C: D0480030 00033F9F
	v_add3_u32 v39, v159, v42, 1                               // 000000007654: D1FF0027 0206559F
	v_cndmask_b32_e64 v45, v39, v41, s[48:49]                  // 00000000765C: D100002D 00C25327
	v_perm_b32 v155, v45, v44, s52                             // 000000007664: D1ED009B 00D2592D
	v_cmp_u_f32_e64 s[48:49], v160, v160                       // 00000000766C: D0480030 000341A0
	v_add3_u32 v39, v160, v42, 1                               // 000000007674: D1FF0027 020655A0
	v_cndmask_b32_e64 v44, v39, v41, s[48:49]                  // 00000000767C: D100002C 00C25327
	v_cmp_u_f32_e64 s[48:49], v161, v161                       // 000000007684: D0480030 000343A1
	v_add3_u32 v39, v161, v42, 1                               // 00000000768C: D1FF0027 020655A1
	v_cndmask_b32_e64 v45, v39, v41, s[48:49]                  // 000000007694: D100002D 00C25327
	v_perm_b32 v156, v45, v44, s52                             // 00000000769C: D1ED009C 00D2592D
	v_cmp_u_f32_e64 s[48:49], v162, v162                       // 0000000076A4: D0480030 000345A2
	v_add3_u32 v39, v162, v42, 1                               // 0000000076AC: D1FF0027 020655A2
	v_cndmask_b32_e64 v44, v39, v41, s[48:49]                  // 0000000076B4: D100002C 00C25327
	v_cmp_u_f32_e64 s[48:49], v163, v163                       // 0000000076BC: D0480030 000347A3
	v_add3_u32 v39, v163, v42, 1                               // 0000000076C4: D1FF0027 020655A3
	v_cndmask_b32_e64 v45, v39, v41, s[48:49]                  // 0000000076CC: D100002D 00C25327
	v_perm_b32 v157, v45, v44, s52                             // 0000000076D4: D1ED009D 00D2592D
	v_cmp_u_f32_e64 s[48:49], v164, v164                       // 0000000076DC: D0480030 000349A4
	v_add3_u32 v39, v164, v42, 1                               // 0000000076E4: D1FF0027 020655A4
	v_cndmask_b32_e64 v44, v39, v41, s[48:49]                  // 0000000076EC: D100002C 00C25327
	v_cmp_u_f32_e64 s[48:49], v165, v165                       // 0000000076F4: D0480030 00034BA5
	v_add3_u32 v39, v165, v42, 1                               // 0000000076FC: D1FF0027 020655A5
	v_cndmask_b32_e64 v45, v39, v41, s[48:49]                  // 000000007704: D100002D 00C25327
	v_perm_b32 v158, v45, v44, s52                             // 00000000770C: D1ED009E 00D2592D
	v_cmp_u_f32_e64 s[48:49], v166, v166                       // 000000007714: D0480030 00034DA6
	v_add3_u32 v39, v166, v42, 1                               // 00000000771C: D1FF0027 020655A6
	v_cndmask_b32_e64 v44, v39, v41, s[48:49]                  // 000000007724: D100002C 00C25327
	v_cmp_u_f32_e64 s[48:49], v167, v167                       // 00000000772C: D0480030 00034FA7
	v_add3_u32 v39, v167, v42, 1                               // 000000007734: D1FF0027 020655A7
	v_cndmask_b32_e64 v45, v39, v41, s[48:49]                  // 00000000773C: D100002D 00C25327
	v_perm_b32 v159, v45, v44, s52                             // 000000007744: D1ED009F 00D2592D
	v_cmp_u_f32_e64 s[48:49], v168, v168                       // 00000000774C: D0480030 000351A8
	v_add3_u32 v39, v168, v42, 1                               // 000000007754: D1FF0027 020655A8
	v_cndmask_b32_e64 v44, v39, v41, s[48:49]                  // 00000000775C: D100002C 00C25327
	v_cmp_u_f32_e64 s[48:49], v169, v169                       // 000000007764: D0480030 000353A9
	v_add3_u32 v39, v169, v42, 1                               // 00000000776C: D1FF0027 020655A9
	v_cndmask_b32_e64 v45, v39, v41, s[48:49]                  // 000000007774: D100002D 00C25327
	v_perm_b32 v160, v45, v44, s52                             // 00000000777C: D1ED00A0 00D2592D
	v_cmp_u_f32_e64 s[48:49], v170, v170                       // 000000007784: D0480030 000355AA
	v_add3_u32 v39, v170, v42, 1                               // 00000000778C: D1FF0027 020655AA
	v_cndmask_b32_e64 v44, v39, v41, s[48:49]                  // 000000007794: D100002C 00C25327
	v_cmp_u_f32_e64 s[48:49], v171, v171                       // 00000000779C: D0480030 000357AB
	v_add3_u32 v39, v171, v42, 1                               // 0000000077A4: D1FF0027 020655AB
	v_cndmask_b32_e64 v45, v39, v41, s[48:49]                  // 0000000077AC: D100002D 00C25327
	v_perm_b32 v161, v45, v44, s52                             // 0000000077B4: D1ED00A1 00D2592D
	v_cmp_u_f32_e64 s[48:49], v172, v172                       // 0000000077BC: D0480030 000359AC
	v_add3_u32 v39, v172, v42, 1                               // 0000000077C4: D1FF0027 020655AC
	v_cndmask_b32_e64 v44, v39, v41, s[48:49]                  // 0000000077CC: D100002C 00C25327
	v_cmp_u_f32_e64 s[48:49], v173, v173                       // 0000000077D4: D0480030 00035BAD
	v_add3_u32 v39, v173, v42, 1                               // 0000000077DC: D1FF0027 020655AD
	v_cndmask_b32_e64 v45, v39, v41, s[48:49]                  // 0000000077E4: D100002D 00C25327
	v_perm_b32 v162, v45, v44, s52                             // 0000000077EC: D1ED00A2 00D2592D
	v_cmp_u_f32_e64 s[48:49], v174, v174                       // 0000000077F4: D0480030 00035DAE
	v_add3_u32 v39, v174, v42, 1                               // 0000000077FC: D1FF0027 020655AE
	v_cndmask_b32_e64 v44, v39, v41, s[48:49]                  // 000000007804: D100002C 00C25327
	v_cmp_u_f32_e64 s[48:49], v175, v175                       // 00000000780C: D0480030 00035FAF
	v_add3_u32 v39, v175, v42, 1                               // 000000007814: D1FF0027 020655AF
	v_cndmask_b32_e64 v45, v39, v41, s[48:49]                  // 00000000781C: D100002D 00C25327
	v_perm_b32 v163, v45, v44, s52                             // 000000007824: D1ED00A3 00D2592D
	v_cmp_u_f32_e64 s[48:49], v176, v176                       // 00000000782C: D0480030 000361B0
	v_add3_u32 v39, v176, v42, 1                               // 000000007834: D1FF0027 020655B0
	v_cndmask_b32_e64 v44, v39, v41, s[48:49]                  // 00000000783C: D100002C 00C25327
	v_cmp_u_f32_e64 s[48:49], v177, v177                       // 000000007844: D0480030 000363B1
	v_add3_u32 v39, v177, v42, 1                               // 00000000784C: D1FF0027 020655B1
	v_cndmask_b32_e64 v45, v39, v41, s[48:49]                  // 000000007854: D100002D 00C25327
	v_perm_b32 v164, v45, v44, s52                             // 00000000785C: D1ED00A4 00D2592D
	v_cmp_u_f32_e64 s[48:49], v178, v178                       // 000000007864: D0480030 000365B2
	v_add3_u32 v39, v178, v42, 1                               // 00000000786C: D1FF0027 020655B2
	v_cndmask_b32_e64 v44, v39, v41, s[48:49]                  // 000000007874: D100002C 00C25327
	v_cmp_u_f32_e64 s[48:49], v179, v179                       // 00000000787C: D0480030 000367B3
	v_add3_u32 v39, v179, v42, 1                               // 000000007884: D1FF0027 020655B3
	v_cndmask_b32_e64 v45, v39, v41, s[48:49]                  // 00000000788C: D100002D 00C25327
	v_perm_b32 v165, v45, v44, s52                             // 000000007894: D1ED00A5 00D2592D
	v_cmp_u_f32_e64 s[48:49], v180, v180                       // 00000000789C: D0480030 000369B4
	v_add3_u32 v39, v180, v42, 1                               // 0000000078A4: D1FF0027 020655B4
	v_cndmask_b32_e64 v44, v39, v41, s[48:49]                  // 0000000078AC: D100002C 00C25327
	v_cmp_u_f32_e64 s[48:49], v181, v181                       // 0000000078B4: D0480030 00036BB5
	v_add3_u32 v39, v181, v42, 1                               // 0000000078BC: D1FF0027 020655B5
	v_cndmask_b32_e64 v45, v39, v41, s[48:49]                  // 0000000078C4: D100002D 00C25327
	v_perm_b32 v166, v45, v44, s52                             // 0000000078CC: D1ED00A6 00D2592D
	v_cmp_u_f32_e64 s[48:49], v182, v182                       // 0000000078D4: D0480030 00036DB6
	v_add3_u32 v39, v182, v42, 1                               // 0000000078DC: D1FF0027 020655B6
	v_cndmask_b32_e64 v44, v39, v41, s[48:49]                  // 0000000078E4: D100002C 00C25327
	v_cmp_u_f32_e64 s[48:49], v183, v183                       // 0000000078EC: D0480030 00036FB7
	v_add3_u32 v39, v183, v42, 1                               // 0000000078F4: D1FF0027 020655B7
	v_cndmask_b32_e64 v45, v39, v41, s[48:49]                  // 0000000078FC: D100002D 00C25327
	v_perm_b32 v167, v45, v44, s52                             // 000000007904: D1ED00A7 00D2592D
	ds_write_b64 v3, v[152:153] offset:24832                   // 00000000790C: D89A6100 00009803
	ds_write_b64 v3, v[154:155] offset:33536                   // 000000007914: D89A8300 00009A03
	ds_write_b64 v3, v[156:157] offset:27008                   // 00000000791C: D89A6980 00009C03
	ds_write_b64 v3, v[158:159] offset:35712                   // 000000007924: D89A8B80 00009E03
	ds_write_b64 v3, v[160:161] offset:29184                   // 00000000792C: D89A7200 0000A003
	ds_write_b64 v3, v[162:163] offset:37888                   // 000000007934: D89A9400 0000A203
	ds_write_b64 v3, v[164:165] offset:31360                   // 00000000793C: D89A7A80 0000A403
	ds_write_b64 v3, v[166:167] offset:40064                   // 000000007944: D89A9C80 0000A603
	s_waitcnt lgkmcnt(0)                                       // 00000000794C: BF8CC07F
	s_barrier                                                  // 000000007950: BF8A0000
	ds_read_b32 v64, v4 offset:24832                           // 000000007954: D86C6100 40000004
	ds_read_b32 v65, v4 offset:29184                           // 00000000795C: D86C7200 41000004
	ds_read_b32 v66, v4 offset:24864                           // 000000007964: D86C6120 42000004
	ds_read_b32 v67, v4 offset:29216                           // 00000000796C: D86C7220 43000004
	ds_read_b32 v68, v4 offset:24896                           // 000000007974: D86C6140 44000004
	ds_read_b32 v69, v4 offset:29248                           // 00000000797C: D86C7240 45000004
	ds_read_b32 v70, v4 offset:24928                           // 000000007984: D86C6160 46000004
	ds_read_b32 v71, v4 offset:29280                           // 00000000798C: D86C7260 47000004
	ds_read_b32 v72, v4 offset:33536                           // 000000007994: D86C8300 48000004
	ds_read_b32 v73, v4 offset:37888                           // 00000000799C: D86C9400 49000004
	ds_read_b32 v74, v4 offset:33568                           // 0000000079A4: D86C8320 4A000004
	ds_read_b32 v75, v4 offset:37920                           // 0000000079AC: D86C9420 4B000004
	ds_read_b32 v76, v4 offset:33600                           // 0000000079B4: D86C8340 4C000004
	ds_read_b32 v77, v4 offset:37952                           // 0000000079BC: D86C9440 4D000004
	ds_read_b32 v78, v4 offset:33632                           // 0000000079C4: D86C8360 4E000004
	ds_read_b32 v79, v4 offset:37984                           // 0000000079CC: D86C9460 4F000004
	s_waitcnt lgkmcnt(0)                                       // 0000000079D4: BF8CC07F
	s_mov_b64 exec, s[20:21]                                   // 0000000079D8: BEFE0114
	global_atomic_pk_add_bf16 v80, v64, s[8:9]                 // 0000000079DC: DD488000 00084050
	s_mov_b64 exec, s[36:37]                                   // 0000000079E4: BEFE0124
	s_mov_b64 exec, s[20:21]                                   // 0000000079E8: BEFE0114
	global_atomic_pk_add_bf16 v80, v65, s[8:9] offset:256      // 0000000079EC: DD488100 00084150
	s_mov_b64 exec, s[36:37]                                   // 0000000079F4: BEFE0124
	s_mov_b64 exec, s[22:23]                                   // 0000000079F8: BEFE0116
	global_atomic_pk_add_bf16 v82, v66, s[8:9]                 // 0000000079FC: DD488000 00084252
	s_mov_b64 exec, s[36:37]                                   // 000000007A04: BEFE0124
	s_mov_b64 exec, s[22:23]                                   // 000000007A08: BEFE0116
	global_atomic_pk_add_bf16 v82, v67, s[8:9] offset:256      // 000000007A0C: DD488100 00084352
	s_mov_b64 exec, s[36:37]                                   // 000000007A14: BEFE0124
	s_mov_b64 exec, s[24:25]                                   // 000000007A18: BEFE0118
	global_atomic_pk_add_bf16 v84, v68, s[8:9]                 // 000000007A1C: DD488000 00084454
	s_mov_b64 exec, s[36:37]                                   // 000000007A24: BEFE0124
	s_mov_b64 exec, s[24:25]                                   // 000000007A28: BEFE0118
	global_atomic_pk_add_bf16 v84, v69, s[8:9] offset:256      // 000000007A2C: DD488100 00084554
	s_mov_b64 exec, s[36:37]                                   // 000000007A34: BEFE0124
	s_mov_b64 exec, s[26:27]                                   // 000000007A38: BEFE011A
	global_atomic_pk_add_bf16 v86, v70, s[8:9]                 // 000000007A3C: DD488000 00084656
	s_mov_b64 exec, s[36:37]                                   // 000000007A44: BEFE0124
	s_mov_b64 exec, s[26:27]                                   // 000000007A48: BEFE011A
	global_atomic_pk_add_bf16 v86, v71, s[8:9] offset:256      // 000000007A4C: DD488100 00084756
	s_mov_b64 exec, s[36:37]                                   // 000000007A54: BEFE0124
	s_mov_b64 exec, s[28:29]                                   // 000000007A58: BEFE011C
	global_atomic_pk_add_bf16 v88, v72, s[8:9]                 // 000000007A5C: DD488000 00084858
	s_mov_b64 exec, s[36:37]                                   // 000000007A64: BEFE0124
	s_mov_b64 exec, s[28:29]                                   // 000000007A68: BEFE011C
	global_atomic_pk_add_bf16 v88, v73, s[8:9] offset:256      // 000000007A6C: DD488100 00084958
	s_mov_b64 exec, s[36:37]                                   // 000000007A74: BEFE0124
	s_mov_b64 exec, s[30:31]                                   // 000000007A78: BEFE011E
	global_atomic_pk_add_bf16 v90, v74, s[8:9]                 // 000000007A7C: DD488000 00084A5A
	s_mov_b64 exec, s[36:37]                                   // 000000007A84: BEFE0124
	s_mov_b64 exec, s[30:31]                                   // 000000007A88: BEFE011E
	global_atomic_pk_add_bf16 v90, v75, s[8:9] offset:256      // 000000007A8C: DD488100 00084B5A
	s_mov_b64 exec, s[36:37]                                   // 000000007A94: BEFE0124
	s_mov_b64 exec, s[32:33]                                   // 000000007A98: BEFE0120
	global_atomic_pk_add_bf16 v92, v76, s[8:9]                 // 000000007A9C: DD488000 00084C5C
	s_mov_b64 exec, s[36:37]                                   // 000000007AA4: BEFE0124
	s_mov_b64 exec, s[32:33]                                   // 000000007AA8: BEFE0120
	global_atomic_pk_add_bf16 v92, v77, s[8:9] offset:256      // 000000007AAC: DD488100 00084D5C
	s_mov_b64 exec, s[36:37]                                   // 000000007AB4: BEFE0124
	s_mov_b64 exec, s[34:35]                                   // 000000007AB8: BEFE0122
	global_atomic_pk_add_bf16 v94, v78, s[8:9]                 // 000000007ABC: DD488000 00084E5E
	s_mov_b64 exec, s[36:37]                                   // 000000007AC4: BEFE0124
	s_mov_b64 exec, s[34:35]                                   // 000000007AC8: BEFE0122
	global_atomic_pk_add_bf16 v94, v79, s[8:9] offset:256      // 000000007ACC: DD488100 00084F5E
	s_mov_b64 exec, s[36:37]                                   // 000000007AD4: BEFE0124
	s_add_u32 s8, s59, s8                                      // 000000007AD8: 8008083B
	s_addc_u32 s9, 0, s9                                       // 000000007ADC: 82090980
	s_addk_i32 s80, 0x100                                      // 000000007AE0: B7500100
	s_cmp_lt_i32 s80, s81                                      // 000000007AE4: BF045150
	s_cbranch_scc0 label_0C34                                  // 000000007AE8: BF84F839
	s_waitcnt vmcnt(25)                                        // 000000007AEC: BF8C4F79
	s_barrier                                                  // 000000007AF0: BF8A0000
	v_mfma_f32_16x16x32_fp8_fp8 v[184:187], a[48:49], v[128:129], 0// 000000007AF4: D3F300B8 0A030130
	buffer_load_dwordx4 a[0:3], v35, s[12:15], 0 offen         // 000000007AFC: E05C1000 80830023
	v_mfma_f32_16x16x32_fp8_fp8 v[184:187], a[50:51], v[130:131], v[184:187]// 000000007B04: D3F300B8 0EE30532
	v_mfma_f32_16x16x32_fp8_fp8 v[188:191], a[48:49], v[140:141], 0// 000000007B0C: D3F300BC 0A031930
	v_mfma_f32_16x16x32_fp8_fp8 v[188:191], a[50:51], v[142:143], v[188:191]// 000000007B14: D3F300BC 0EF31D32
	v_mfma_f32_16x16x32_fp8_fp8 v[192:195], a[52:53], v[128:129], 0// 000000007B1C: D3F300C0 0A030134
	buffer_load_dwordx4 a[4:7], v36, s[12:15], 0 offen         // 000000007B24: E05C1000 80830424
	v_mfma_f32_16x16x32_fp8_fp8 v[192:195], a[54:55], v[130:131], v[192:195]// 000000007B2C: D3F300C0 0F030536
	v_mfma_f32_16x16x32_fp8_fp8 v[196:199], a[52:53], v[140:141], 0// 000000007B34: D3F300C4 0A031934
	v_mfma_f32_16x16x32_fp8_fp8 v[196:199], a[54:55], v[142:143], v[196:199]// 000000007B3C: D3F300C4 0F131D36
	v_mfma_f32_16x16x32_fp8_fp8 v[200:203], a[56:57], v[128:129], 0// 000000007B44: D3F300C8 0A030138
	buffer_load_dwordx4 a[8:11], v37, s[12:15], 0 offen        // 000000007B4C: E05C1000 80830825
	v_mfma_f32_16x16x32_fp8_fp8 v[200:203], a[58:59], v[130:131], v[200:203]// 000000007B54: D3F300C8 0F23053A
	v_mfma_f32_16x16x32_fp8_fp8 v[204:207], a[56:57], v[140:141], 0// 000000007B5C: D3F300CC 0A031938
	v_mfma_f32_16x16x32_fp8_fp8 v[204:207], a[58:59], v[142:143], v[204:207]// 000000007B64: D3F300CC 0F331D3A
	v_mfma_f32_16x16x32_fp8_fp8 v[208:211], a[60:61], v[128:129], 0// 000000007B6C: D3F300D0 0A03013C
	buffer_load_dwordx4 a[12:15], v38, s[12:15], 0 offen       // 000000007B74: E05C1000 80830C26
	s_add_u32 s12, s78, s12                                    // 000000007B7C: 800C0C4E
	s_addc_u32 s13, 0, s13                                     // 000000007B80: 820D0D80
	v_mfma_f32_16x16x32_fp8_fp8 v[208:211], a[62:63], v[130:131], v[208:211]// 000000007B84: D3F300D0 0F43053E
	v_mfma_f32_16x16x32_fp8_fp8 v[212:215], a[60:61], v[140:141], 0// 000000007B8C: D3F300D4 0A03193C
	v_mfma_f32_16x16x32_fp8_fp8 v[212:215], a[62:63], v[142:143], v[212:215]// 000000007B94: D3F300D4 0F531D3E
	s_waitcnt vmcnt(25)                                        // 000000007B9C: BF8C4F79
	v_mfma_f32_16x16x32_fp8_fp8 v[184:187], a[64:65], v[132:133], v[184:187]// 000000007BA0: D3F300B8 0EE30940
	buffer_load_dwordx4 a[16:19], v35, s[12:15], 0 offen       // 000000007BA8: E05C1000 80831023
	v_mfma_f32_16x16x32_fp8_fp8 v[184:187], a[66:67], v[134:135], v[184:187]// 000000007BB0: D3F300B8 0EE30D42
	v_mfma_f32_16x16x32_fp8_fp8 v[188:191], a[64:65], v[144:145], v[188:191]// 000000007BB8: D3F300BC 0EF32140
	v_mfma_f32_16x16x32_fp8_fp8 v[188:191], a[66:67], v[146:147], v[188:191]// 000000007BC0: D3F300BC 0EF32542
	v_mfma_f32_16x16x32_fp8_fp8 v[192:195], a[68:69], v[132:133], v[192:195]// 000000007BC8: D3F300C0 0F030944
	buffer_load_dwordx4 a[20:23], v36, s[12:15], 0 offen       // 000000007BD0: E05C1000 80831424
	v_mfma_f32_16x16x32_fp8_fp8 v[192:195], a[70:71], v[134:135], v[192:195]// 000000007BD8: D3F300C0 0F030D46
	v_mfma_f32_16x16x32_fp8_fp8 v[196:199], a[68:69], v[144:145], v[196:199]// 000000007BE0: D3F300C4 0F132144
	v_mfma_f32_16x16x32_fp8_fp8 v[196:199], a[70:71], v[146:147], v[196:199]// 000000007BE8: D3F300C4 0F132546
	v_mfma_f32_16x16x32_fp8_fp8 v[200:203], a[72:73], v[132:133], v[200:203]// 000000007BF0: D3F300C8 0F230948
	buffer_load_dwordx4 a[24:27], v37, s[12:15], 0 offen       // 000000007BF8: E05C1000 80831825
	v_mfma_f32_16x16x32_fp8_fp8 v[200:203], a[74:75], v[134:135], v[200:203]// 000000007C00: D3F300C8 0F230D4A
	v_mfma_f32_16x16x32_fp8_fp8 v[204:207], a[72:73], v[144:145], v[204:207]// 000000007C08: D3F300CC 0F332148
	v_mfma_f32_16x16x32_fp8_fp8 v[204:207], a[74:75], v[146:147], v[204:207]// 000000007C10: D3F300CC 0F33254A
	v_mfma_f32_16x16x32_fp8_fp8 v[208:211], a[76:77], v[132:133], v[208:211]// 000000007C18: D3F300D0 0F43094C
	buffer_load_dwordx4 a[28:31], v38, s[12:15], 0 offen       // 000000007C20: E05C1000 80831C26
	s_add_u32 s12, s78, s12                                    // 000000007C28: 800C0C4E
	s_addc_u32 s13, 0, s13                                     // 000000007C2C: 820D0D80
	v_mfma_f32_16x16x32_fp8_fp8 v[208:211], a[78:79], v[134:135], v[208:211]// 000000007C30: D3F300D0 0F430D4E
	v_mfma_f32_16x16x32_fp8_fp8 v[212:215], a[76:77], v[144:145], v[212:215]// 000000007C38: D3F300D4 0F53214C
	v_mfma_f32_16x16x32_fp8_fp8 v[212:215], a[78:79], v[146:147], v[212:215]// 000000007C40: D3F300D4 0F53254E
	s_waitcnt vmcnt(24)                                        // 000000007C48: BF8C4F78
	v_mfma_f32_16x16x32_fp8_fp8 v[184:187], a[80:81], v[136:137], v[184:187]// 000000007C4C: D3F300B8 0EE31150
	buffer_load_dwordx4 a[32:35], v35, s[12:15], 0 offen       // 000000007C54: E05C1000 80832023
	v_mfma_f32_16x16x32_fp8_fp8 v[184:187], a[82:83], v[138:139], v[184:187]// 000000007C5C: D3F300B8 0EE31552
	v_mfma_f32_16x16x32_fp8_fp8 v[188:191], a[80:81], v[148:149], v[188:191]// 000000007C64: D3F300BC 0EF32950
	buffer_load_dword v11, v5, s[16:19], 0 offen               // 000000007C6C: E0501000 80040B05
	v_mfma_f32_16x16x32_fp8_fp8 v[188:191], a[82:83], v[150:151], v[188:191]// 000000007C74: D3F300BC 0EF32D52
	v_mfma_f32_16x16x32_fp8_fp8 v[192:195], a[84:85], v[136:137], v[192:195]// 000000007C7C: D3F300C0 0F031154
	buffer_load_dwordx4 a[36:39], v36, s[12:15], 0 offen       // 000000007C84: E05C1000 80832424
	v_mfma_f32_16x16x32_fp8_fp8 v[192:195], a[86:87], v[138:139], v[192:195]// 000000007C8C: D3F300C0 0F031556
	v_mfma_f32_16x16x32_fp8_fp8 v[196:199], a[84:85], v[148:149], v[196:199]// 000000007C94: D3F300C4 0F132954
	v_mfma_f32_16x16x32_fp8_fp8 v[196:199], a[86:87], v[150:151], v[196:199]// 000000007C9C: D3F300C4 0F132D56
	v_mfma_f32_16x16x32_fp8_fp8 v[200:203], a[88:89], v[136:137], v[200:203]// 000000007CA4: D3F300C8 0F231158
	buffer_load_dwordx4 a[40:43], v37, s[12:15], 0 offen       // 000000007CAC: E05C1000 80832825
	v_mfma_f32_16x16x32_fp8_fp8 v[200:203], a[90:91], v[138:139], v[200:203]// 000000007CB4: D3F300C8 0F23155A
	v_mfma_f32_16x16x32_fp8_fp8 v[204:207], a[88:89], v[148:149], v[204:207]// 000000007CBC: D3F300CC 0F332958
	v_mfma_f32_16x16x32_fp8_fp8 v[204:207], a[90:91], v[150:151], v[204:207]// 000000007CC4: D3F300CC 0F332D5A
	v_mfma_f32_16x16x32_fp8_fp8 v[208:211], a[92:93], v[136:137], v[208:211]// 000000007CCC: D3F300D0 0F43115C
	buffer_load_dwordx4 a[44:47], v38, s[12:15], 0 offen       // 000000007CD4: E05C1000 80832C26
	v_mfma_f32_16x16x32_fp8_fp8 v[208:211], a[94:95], v[138:139], v[208:211]// 000000007CDC: D3F300D0 0F43155E
	v_mfma_f32_16x16x32_fp8_fp8 v[212:215], a[92:93], v[148:149], v[212:215]// 000000007CE4: D3F300D4 0F53295C
	v_mfma_f32_16x16x32_fp8_fp8 v[212:215], a[94:95], v[150:151], v[212:215]// 000000007CEC: D3F300D4 0F532D5E
	s_add_u32 s60, 0x200, s80                                  // 000000007CF4: 803C50FF 00000200
	s_cmp_lt_u32 s60, s81                                      // 000000007CFC: BF0A513C
	s_cselect_b32 s56, s56, 0                                  // 000000007D00: 85388038
	s_cselect_b32 s78, s78, 0                                  // 000000007D04: 854E804E
	s_cselect_b32 s79, s79, 0                                  // 000000007D08: 854F804F
	s_add_u32 s12, s56, s12                                    // 000000007D0C: 800C0C38
	s_addc_u32 s13, 0, s13                                     // 000000007D10: 820D0D80
	s_add_u32 s16, s79, s16                                    // 000000007D14: 8010104F
	s_addc_u32 s17, 0, s17                                     // 000000007D18: 82111180
	v_mul_f32_e32 v184, v22, v184                              // 000000007D1C: 0B717116
	v_mul_f32_e32 v185, v22, v185                              // 000000007D20: 0B737316
	v_mul_f32_e32 v186, v22, v186                              // 000000007D24: 0B757516
	v_mul_f32_e32 v187, v22, v187                              // 000000007D28: 0B777716
	v_mul_f32_dpp v184, v12, v184 row_newbcast:0 row_mask:0xf bank_mask:0xf// 000000007D2C: 0B7170FA FF01500C
	v_mul_f32_dpp v185, v12, v185 row_newbcast:1 row_mask:0xf bank_mask:0xf// 000000007D34: 0B7372FA FF01510C
	v_mul_f32_dpp v186, v12, v186 row_newbcast:2 row_mask:0xf bank_mask:0xf// 000000007D3C: 0B7574FA FF01520C
	v_mul_f32_dpp v187, v12, v187 row_newbcast:3 row_mask:0xf bank_mask:0xf// 000000007D44: 0B7776FA FF01530C
	v_mul_f32_e32 v188, v23, v188                              // 000000007D4C: 0B797917
	v_mul_f32_e32 v189, v23, v189                              // 000000007D50: 0B7B7B17
	v_mul_f32_e32 v190, v23, v190                              // 000000007D54: 0B7D7D17
	v_mul_f32_e32 v191, v23, v191                              // 000000007D58: 0B7F7F17
	v_mul_f32_dpp v188, v12, v188 row_newbcast:0 row_mask:0xf bank_mask:0xf// 000000007D5C: 0B7978FA FF01500C
	v_mul_f32_dpp v189, v12, v189 row_newbcast:1 row_mask:0xf bank_mask:0xf// 000000007D64: 0B7B7AFA FF01510C
	v_mul_f32_dpp v190, v12, v190 row_newbcast:2 row_mask:0xf bank_mask:0xf// 000000007D6C: 0B7D7CFA FF01520C
	v_mul_f32_dpp v191, v12, v191 row_newbcast:3 row_mask:0xf bank_mask:0xf// 000000007D74: 0B7F7EFA FF01530C
	v_mul_f32_e32 v192, v22, v192                              // 000000007D7C: 0B818116
	v_mul_f32_e32 v193, v22, v193                              // 000000007D80: 0B838316
	v_mul_f32_e32 v194, v22, v194                              // 000000007D84: 0B858516
	v_mul_f32_e32 v195, v22, v195                              // 000000007D88: 0B878716
	v_mul_f32_dpp v192, v12, v192 row_newbcast:4 row_mask:0xf bank_mask:0xf// 000000007D8C: 0B8180FA FF01540C
	v_mul_f32_dpp v193, v12, v193 row_newbcast:5 row_mask:0xf bank_mask:0xf// 000000007D94: 0B8382FA FF01550C
	v_mul_f32_dpp v194, v12, v194 row_newbcast:6 row_mask:0xf bank_mask:0xf// 000000007D9C: 0B8584FA FF01560C
	v_mul_f32_dpp v195, v12, v195 row_newbcast:7 row_mask:0xf bank_mask:0xf// 000000007DA4: 0B8786FA FF01570C
	v_mul_f32_e32 v196, v23, v196                              // 000000007DAC: 0B898917
	v_mul_f32_e32 v197, v23, v197                              // 000000007DB0: 0B8B8B17
	v_mul_f32_e32 v198, v23, v198                              // 000000007DB4: 0B8D8D17
	v_mul_f32_e32 v199, v23, v199                              // 000000007DB8: 0B8F8F17
	v_mul_f32_dpp v196, v12, v196 row_newbcast:4 row_mask:0xf bank_mask:0xf// 000000007DBC: 0B8988FA FF01540C
	v_mul_f32_dpp v197, v12, v197 row_newbcast:5 row_mask:0xf bank_mask:0xf// 000000007DC4: 0B8B8AFA FF01550C
	v_mul_f32_dpp v198, v12, v198 row_newbcast:6 row_mask:0xf bank_mask:0xf// 000000007DCC: 0B8D8CFA FF01560C
	v_mul_f32_dpp v199, v12, v199 row_newbcast:7 row_mask:0xf bank_mask:0xf// 000000007DD4: 0B8F8EFA FF01570C
	v_mul_f32_e32 v200, v22, v200                              // 000000007DDC: 0B919116
	v_mul_f32_e32 v201, v22, v201                              // 000000007DE0: 0B939316
	v_mul_f32_e32 v202, v22, v202                              // 000000007DE4: 0B959516
	v_mul_f32_e32 v203, v22, v203                              // 000000007DE8: 0B979716
	v_mul_f32_dpp v200, v12, v200 row_newbcast:8 row_mask:0xf bank_mask:0xf// 000000007DEC: 0B9190FA FF01580C
	v_mul_f32_dpp v201, v12, v201 row_newbcast:9 row_mask:0xf bank_mask:0xf// 000000007DF4: 0B9392FA FF01590C
	v_mul_f32_dpp v202, v12, v202 row_newbcast:10 row_mask:0xf bank_mask:0xf// 000000007DFC: 0B9594FA FF015A0C
	v_mul_f32_dpp v203, v12, v203 row_newbcast:11 row_mask:0xf bank_mask:0xf// 000000007E04: 0B9796FA FF015B0C
	v_mul_f32_e32 v204, v23, v204                              // 000000007E0C: 0B999917
	v_mul_f32_e32 v205, v23, v205                              // 000000007E10: 0B9B9B17
	v_mul_f32_e32 v206, v23, v206                              // 000000007E14: 0B9D9D17
	v_mul_f32_e32 v207, v23, v207                              // 000000007E18: 0B9F9F17
	v_mul_f32_dpp v204, v12, v204 row_newbcast:8 row_mask:0xf bank_mask:0xf// 000000007E1C: 0B9998FA FF01580C
	v_mul_f32_dpp v205, v12, v205 row_newbcast:9 row_mask:0xf bank_mask:0xf// 000000007E24: 0B9B9AFA FF01590C
	v_mul_f32_dpp v206, v12, v206 row_newbcast:10 row_mask:0xf bank_mask:0xf// 000000007E2C: 0B9D9CFA FF015A0C
	v_mul_f32_dpp v207, v12, v207 row_newbcast:11 row_mask:0xf bank_mask:0xf// 000000007E34: 0B9F9EFA FF015B0C
	v_mul_f32_e32 v208, v22, v208                              // 000000007E3C: 0BA1A116
	v_mul_f32_e32 v209, v22, v209                              // 000000007E40: 0BA3A316
	v_mul_f32_e32 v210, v22, v210                              // 000000007E44: 0BA5A516
	v_mul_f32_e32 v211, v22, v211                              // 000000007E48: 0BA7A716
	v_mul_f32_dpp v208, v12, v208 row_newbcast:12 row_mask:0xf bank_mask:0xf// 000000007E4C: 0BA1A0FA FF015C0C
	v_mul_f32_dpp v209, v12, v209 row_newbcast:13 row_mask:0xf bank_mask:0xf// 000000007E54: 0BA3A2FA FF015D0C
	v_mul_f32_dpp v210, v12, v210 row_newbcast:14 row_mask:0xf bank_mask:0xf// 000000007E5C: 0BA5A4FA FF015E0C
	v_mul_f32_dpp v211, v12, v211 row_newbcast:15 row_mask:0xf bank_mask:0xf// 000000007E64: 0BA7A6FA FF015F0C
	v_mul_f32_e32 v212, v23, v212                              // 000000007E6C: 0BA9A917
	v_mul_f32_e32 v213, v23, v213                              // 000000007E70: 0BABAB17
	v_mul_f32_e32 v214, v23, v214                              // 000000007E74: 0BADAD17
	v_mul_f32_e32 v215, v23, v215                              // 000000007E78: 0BAFAF17
	v_mul_f32_dpp v212, v12, v212 row_newbcast:12 row_mask:0xf bank_mask:0xf// 000000007E7C: 0BA9A8FA FF015C0C
	v_mul_f32_dpp v213, v12, v213 row_newbcast:13 row_mask:0xf bank_mask:0xf// 000000007E84: 0BABAAFA FF015D0C
	v_mul_f32_dpp v214, v12, v214 row_newbcast:14 row_mask:0xf bank_mask:0xf// 000000007E8C: 0BADACFA FF015E0C
	v_mul_f32_dpp v215, v12, v215 row_newbcast:15 row_mask:0xf bank_mask:0xf// 000000007E94: 0BAFAEFA FF015F0C
	v_cmp_u_f32_e64 s[48:49], v184, v184                       // 000000007E9C: D0480030 000371B8
	v_add3_u32 v39, v184, v42, 1                               // 000000007EA4: D1FF0027 020655B8
	v_cndmask_b32_e64 v44, v39, v41, s[48:49]                  // 000000007EAC: D100002C 00C25327
	v_cmp_u_f32_e64 s[48:49], v185, v185                       // 000000007EB4: D0480030 000373B9
	v_add3_u32 v39, v185, v42, 1                               // 000000007EBC: D1FF0027 020655B9
	v_cndmask_b32_e64 v45, v39, v41, s[48:49]                  // 000000007EC4: D100002D 00C25327
	v_perm_b32 v184, v45, v44, s52                             // 000000007ECC: D1ED00B8 00D2592D
	v_cmp_u_f32_e64 s[48:49], v186, v186                       // 000000007ED4: D0480030 000375BA
	v_add3_u32 v39, v186, v42, 1                               // 000000007EDC: D1FF0027 020655BA
	v_cndmask_b32_e64 v44, v39, v41, s[48:49]                  // 000000007EE4: D100002C 00C25327
	v_cmp_u_f32_e64 s[48:49], v187, v187                       // 000000007EEC: D0480030 000377BB
	v_add3_u32 v39, v187, v42, 1                               // 000000007EF4: D1FF0027 020655BB
	v_cndmask_b32_e64 v45, v39, v41, s[48:49]                  // 000000007EFC: D100002D 00C25327
	v_perm_b32 v185, v45, v44, s52                             // 000000007F04: D1ED00B9 00D2592D
	v_cmp_u_f32_e64 s[48:49], v188, v188                       // 000000007F0C: D0480030 000379BC
	v_add3_u32 v39, v188, v42, 1                               // 000000007F14: D1FF0027 020655BC
	v_cndmask_b32_e64 v44, v39, v41, s[48:49]                  // 000000007F1C: D100002C 00C25327
	v_cmp_u_f32_e64 s[48:49], v189, v189                       // 000000007F24: D0480030 00037BBD
	v_add3_u32 v39, v189, v42, 1                               // 000000007F2C: D1FF0027 020655BD
	v_cndmask_b32_e64 v45, v39, v41, s[48:49]                  // 000000007F34: D100002D 00C25327
	v_perm_b32 v186, v45, v44, s52                             // 000000007F3C: D1ED00BA 00D2592D
	v_cmp_u_f32_e64 s[48:49], v190, v190                       // 000000007F44: D0480030 00037DBE
	v_add3_u32 v39, v190, v42, 1                               // 000000007F4C: D1FF0027 020655BE
	v_cndmask_b32_e64 v44, v39, v41, s[48:49]                  // 000000007F54: D100002C 00C25327
	v_cmp_u_f32_e64 s[48:49], v191, v191                       // 000000007F5C: D0480030 00037FBF
	v_add3_u32 v39, v191, v42, 1                               // 000000007F64: D1FF0027 020655BF
	v_cndmask_b32_e64 v45, v39, v41, s[48:49]                  // 000000007F6C: D100002D 00C25327
	v_perm_b32 v187, v45, v44, s52                             // 000000007F74: D1ED00BB 00D2592D
	v_cmp_u_f32_e64 s[48:49], v192, v192                       // 000000007F7C: D0480030 000381C0
	v_add3_u32 v39, v192, v42, 1                               // 000000007F84: D1FF0027 020655C0
	v_cndmask_b32_e64 v44, v39, v41, s[48:49]                  // 000000007F8C: D100002C 00C25327
	v_cmp_u_f32_e64 s[48:49], v193, v193                       // 000000007F94: D0480030 000383C1
	v_add3_u32 v39, v193, v42, 1                               // 000000007F9C: D1FF0027 020655C1
	v_cndmask_b32_e64 v45, v39, v41, s[48:49]                  // 000000007FA4: D100002D 00C25327
	v_perm_b32 v188, v45, v44, s52                             // 000000007FAC: D1ED00BC 00D2592D
	v_cmp_u_f32_e64 s[48:49], v194, v194                       // 000000007FB4: D0480030 000385C2
	v_add3_u32 v39, v194, v42, 1                               // 000000007FBC: D1FF0027 020655C2
	v_cndmask_b32_e64 v44, v39, v41, s[48:49]                  // 000000007FC4: D100002C 00C25327
	v_cmp_u_f32_e64 s[48:49], v195, v195                       // 000000007FCC: D0480030 000387C3
	v_add3_u32 v39, v195, v42, 1                               // 000000007FD4: D1FF0027 020655C3
	v_cndmask_b32_e64 v45, v39, v41, s[48:49]                  // 000000007FDC: D100002D 00C25327
	v_perm_b32 v189, v45, v44, s52                             // 000000007FE4: D1ED00BD 00D2592D
	v_cmp_u_f32_e64 s[48:49], v196, v196                       // 000000007FEC: D0480030 000389C4
	v_add3_u32 v39, v196, v42, 1                               // 000000007FF4: D1FF0027 020655C4
	v_cndmask_b32_e64 v44, v39, v41, s[48:49]                  // 000000007FFC: D100002C 00C25327
	v_cmp_u_f32_e64 s[48:49], v197, v197                       // 000000008004: D0480030 00038BC5
	v_add3_u32 v39, v197, v42, 1                               // 00000000800C: D1FF0027 020655C5
	v_cndmask_b32_e64 v45, v39, v41, s[48:49]                  // 000000008014: D100002D 00C25327
	v_perm_b32 v190, v45, v44, s52                             // 00000000801C: D1ED00BE 00D2592D
	v_cmp_u_f32_e64 s[48:49], v198, v198                       // 000000008024: D0480030 00038DC6
	v_add3_u32 v39, v198, v42, 1                               // 00000000802C: D1FF0027 020655C6
	v_cndmask_b32_e64 v44, v39, v41, s[48:49]                  // 000000008034: D100002C 00C25327
	v_cmp_u_f32_e64 s[48:49], v199, v199                       // 00000000803C: D0480030 00038FC7
	v_add3_u32 v39, v199, v42, 1                               // 000000008044: D1FF0027 020655C7
	v_cndmask_b32_e64 v45, v39, v41, s[48:49]                  // 00000000804C: D100002D 00C25327
	v_perm_b32 v191, v45, v44, s52                             // 000000008054: D1ED00BF 00D2592D
	v_cmp_u_f32_e64 s[48:49], v200, v200                       // 00000000805C: D0480030 000391C8
	v_add3_u32 v39, v200, v42, 1                               // 000000008064: D1FF0027 020655C8
	v_cndmask_b32_e64 v44, v39, v41, s[48:49]                  // 00000000806C: D100002C 00C25327
	v_cmp_u_f32_e64 s[48:49], v201, v201                       // 000000008074: D0480030 000393C9
	v_add3_u32 v39, v201, v42, 1                               // 00000000807C: D1FF0027 020655C9
	v_cndmask_b32_e64 v45, v39, v41, s[48:49]                  // 000000008084: D100002D 00C25327
	v_perm_b32 v192, v45, v44, s52                             // 00000000808C: D1ED00C0 00D2592D
	v_cmp_u_f32_e64 s[48:49], v202, v202                       // 000000008094: D0480030 000395CA
	v_add3_u32 v39, v202, v42, 1                               // 00000000809C: D1FF0027 020655CA
	v_cndmask_b32_e64 v44, v39, v41, s[48:49]                  // 0000000080A4: D100002C 00C25327
	v_cmp_u_f32_e64 s[48:49], v203, v203                       // 0000000080AC: D0480030 000397CB
	v_add3_u32 v39, v203, v42, 1                               // 0000000080B4: D1FF0027 020655CB
	v_cndmask_b32_e64 v45, v39, v41, s[48:49]                  // 0000000080BC: D100002D 00C25327
	v_perm_b32 v193, v45, v44, s52                             // 0000000080C4: D1ED00C1 00D2592D
	v_cmp_u_f32_e64 s[48:49], v204, v204                       // 0000000080CC: D0480030 000399CC
	v_add3_u32 v39, v204, v42, 1                               // 0000000080D4: D1FF0027 020655CC
	v_cndmask_b32_e64 v44, v39, v41, s[48:49]                  // 0000000080DC: D100002C 00C25327
	v_cmp_u_f32_e64 s[48:49], v205, v205                       // 0000000080E4: D0480030 00039BCD
	v_add3_u32 v39, v205, v42, 1                               // 0000000080EC: D1FF0027 020655CD
	v_cndmask_b32_e64 v45, v39, v41, s[48:49]                  // 0000000080F4: D100002D 00C25327
	v_perm_b32 v194, v45, v44, s52                             // 0000000080FC: D1ED00C2 00D2592D
	v_cmp_u_f32_e64 s[48:49], v206, v206                       // 000000008104: D0480030 00039DCE
	v_add3_u32 v39, v206, v42, 1                               // 00000000810C: D1FF0027 020655CE
	v_cndmask_b32_e64 v44, v39, v41, s[48:49]                  // 000000008114: D100002C 00C25327
	v_cmp_u_f32_e64 s[48:49], v207, v207                       // 00000000811C: D0480030 00039FCF
	v_add3_u32 v39, v207, v42, 1                               // 000000008124: D1FF0027 020655CF
	v_cndmask_b32_e64 v45, v39, v41, s[48:49]                  // 00000000812C: D100002D 00C25327
	v_perm_b32 v195, v45, v44, s52                             // 000000008134: D1ED00C3 00D2592D
	v_cmp_u_f32_e64 s[48:49], v208, v208                       // 00000000813C: D0480030 0003A1D0
	v_add3_u32 v39, v208, v42, 1                               // 000000008144: D1FF0027 020655D0
	v_cndmask_b32_e64 v44, v39, v41, s[48:49]                  // 00000000814C: D100002C 00C25327
	v_cmp_u_f32_e64 s[48:49], v209, v209                       // 000000008154: D0480030 0003A3D1
	v_add3_u32 v39, v209, v42, 1                               // 00000000815C: D1FF0027 020655D1
	v_cndmask_b32_e64 v45, v39, v41, s[48:49]                  // 000000008164: D100002D 00C25327
	v_perm_b32 v196, v45, v44, s52                             // 00000000816C: D1ED00C4 00D2592D
	v_cmp_u_f32_e64 s[48:49], v210, v210                       // 000000008174: D0480030 0003A5D2
	v_add3_u32 v39, v210, v42, 1                               // 00000000817C: D1FF0027 020655D2
	v_cndmask_b32_e64 v44, v39, v41, s[48:49]                  // 000000008184: D100002C 00C25327
	v_cmp_u_f32_e64 s[48:49], v211, v211                       // 00000000818C: D0480030 0003A7D3
	v_add3_u32 v39, v211, v42, 1                               // 000000008194: D1FF0027 020655D3
	v_cndmask_b32_e64 v45, v39, v41, s[48:49]                  // 00000000819C: D100002D 00C25327
	v_perm_b32 v197, v45, v44, s52                             // 0000000081A4: D1ED00C5 00D2592D
	v_cmp_u_f32_e64 s[48:49], v212, v212                       // 0000000081AC: D0480030 0003A9D4
	v_add3_u32 v39, v212, v42, 1                               // 0000000081B4: D1FF0027 020655D4
	v_cndmask_b32_e64 v44, v39, v41, s[48:49]                  // 0000000081BC: D100002C 00C25327
	v_cmp_u_f32_e64 s[48:49], v213, v213                       // 0000000081C4: D0480030 0003ABD5
	v_add3_u32 v39, v213, v42, 1                               // 0000000081CC: D1FF0027 020655D5
	v_cndmask_b32_e64 v45, v39, v41, s[48:49]                  // 0000000081D4: D100002D 00C25327
	v_perm_b32 v198, v45, v44, s52                             // 0000000081DC: D1ED00C6 00D2592D
	v_cmp_u_f32_e64 s[48:49], v214, v214                       // 0000000081E4: D0480030 0003ADD6
	v_add3_u32 v39, v214, v42, 1                               // 0000000081EC: D1FF0027 020655D6
	v_cndmask_b32_e64 v44, v39, v41, s[48:49]                  // 0000000081F4: D100002C 00C25327
	v_cmp_u_f32_e64 s[48:49], v215, v215                       // 0000000081FC: D0480030 0003AFD7
	v_add3_u32 v39, v215, v42, 1                               // 000000008204: D1FF0027 020655D7
	v_cndmask_b32_e64 v45, v39, v41, s[48:49]                  // 00000000820C: D100002D 00C25327
	v_perm_b32 v199, v45, v44, s52                             // 000000008214: D1ED00C7 00D2592D
	ds_write_b64 v3, v[184:185] offset:24832                   // 00000000821C: D89A6100 0000B803
	ds_write_b64 v3, v[186:187] offset:33536                   // 000000008224: D89A8300 0000BA03
	ds_write_b64 v3, v[188:189] offset:27008                   // 00000000822C: D89A6980 0000BC03
	ds_write_b64 v3, v[190:191] offset:35712                   // 000000008234: D89A8B80 0000BE03
	ds_write_b64 v3, v[192:193] offset:29184                   // 00000000823C: D89A7200 0000C003
	ds_write_b64 v3, v[194:195] offset:37888                   // 000000008244: D89A9400 0000C203
	ds_write_b64 v3, v[196:197] offset:31360                   // 00000000824C: D89A7A80 0000C403
	ds_write_b64 v3, v[198:199] offset:40064                   // 000000008254: D89A9C80 0000C603
	s_waitcnt lgkmcnt(0)                                       // 00000000825C: BF8CC07F
	s_barrier                                                  // 000000008260: BF8A0000
	ds_read_b32 v64, v4 offset:24832                           // 000000008264: D86C6100 40000004
	ds_read_b32 v65, v4 offset:29184                           // 00000000826C: D86C7200 41000004
	ds_read_b32 v66, v4 offset:24864                           // 000000008274: D86C6120 42000004
	ds_read_b32 v67, v4 offset:29216                           // 00000000827C: D86C7220 43000004
	ds_read_b32 v68, v4 offset:24896                           // 000000008284: D86C6140 44000004
	ds_read_b32 v69, v4 offset:29248                           // 00000000828C: D86C7240 45000004
	ds_read_b32 v70, v4 offset:24928                           // 000000008294: D86C6160 46000004
	ds_read_b32 v71, v4 offset:29280                           // 00000000829C: D86C7260 47000004
	ds_read_b32 v72, v4 offset:33536                           // 0000000082A4: D86C8300 48000004
	ds_read_b32 v73, v4 offset:37888                           // 0000000082AC: D86C9400 49000004
	ds_read_b32 v74, v4 offset:33568                           // 0000000082B4: D86C8320 4A000004
	ds_read_b32 v75, v4 offset:37920                           // 0000000082BC: D86C9420 4B000004
	ds_read_b32 v76, v4 offset:33600                           // 0000000082C4: D86C8340 4C000004
	ds_read_b32 v77, v4 offset:37952                           // 0000000082CC: D86C9440 4D000004
	ds_read_b32 v78, v4 offset:33632                           // 0000000082D4: D86C8360 4E000004
	ds_read_b32 v79, v4 offset:37984                           // 0000000082DC: D86C9460 4F000004
	s_waitcnt lgkmcnt(0)                                       // 0000000082E4: BF8CC07F
	s_mov_b64 exec, s[20:21]                                   // 0000000082E8: BEFE0114
	global_atomic_pk_add_bf16 v80, v64, s[8:9]                 // 0000000082EC: DD488000 00084050
	s_mov_b64 exec, s[36:37]                                   // 0000000082F4: BEFE0124
	s_mov_b64 exec, s[20:21]                                   // 0000000082F8: BEFE0114
	global_atomic_pk_add_bf16 v80, v65, s[8:9] offset:256      // 0000000082FC: DD488100 00084150
	s_mov_b64 exec, s[36:37]                                   // 000000008304: BEFE0124
	s_mov_b64 exec, s[22:23]                                   // 000000008308: BEFE0116
	global_atomic_pk_add_bf16 v82, v66, s[8:9]                 // 00000000830C: DD488000 00084252
	s_mov_b64 exec, s[36:37]                                   // 000000008314: BEFE0124
	s_mov_b64 exec, s[22:23]                                   // 000000008318: BEFE0116
	global_atomic_pk_add_bf16 v82, v67, s[8:9] offset:256      // 00000000831C: DD488100 00084352
	s_mov_b64 exec, s[36:37]                                   // 000000008324: BEFE0124
	s_mov_b64 exec, s[24:25]                                   // 000000008328: BEFE0118
	global_atomic_pk_add_bf16 v84, v68, s[8:9]                 // 00000000832C: DD488000 00084454
	s_mov_b64 exec, s[36:37]                                   // 000000008334: BEFE0124
	s_mov_b64 exec, s[24:25]                                   // 000000008338: BEFE0118
	global_atomic_pk_add_bf16 v84, v69, s[8:9] offset:256      // 00000000833C: DD488100 00084554
	s_mov_b64 exec, s[36:37]                                   // 000000008344: BEFE0124
	s_mov_b64 exec, s[26:27]                                   // 000000008348: BEFE011A
	global_atomic_pk_add_bf16 v86, v70, s[8:9]                 // 00000000834C: DD488000 00084656
	s_mov_b64 exec, s[36:37]                                   // 000000008354: BEFE0124
	s_mov_b64 exec, s[26:27]                                   // 000000008358: BEFE011A
	global_atomic_pk_add_bf16 v86, v71, s[8:9] offset:256      // 00000000835C: DD488100 00084756
	s_mov_b64 exec, s[36:37]                                   // 000000008364: BEFE0124
	s_mov_b64 exec, s[28:29]                                   // 000000008368: BEFE011C
	global_atomic_pk_add_bf16 v88, v72, s[8:9]                 // 00000000836C: DD488000 00084858
	s_mov_b64 exec, s[36:37]                                   // 000000008374: BEFE0124
	s_mov_b64 exec, s[28:29]                                   // 000000008378: BEFE011C
	global_atomic_pk_add_bf16 v88, v73, s[8:9] offset:256      // 00000000837C: DD488100 00084958
	s_mov_b64 exec, s[36:37]                                   // 000000008384: BEFE0124
	s_mov_b64 exec, s[30:31]                                   // 000000008388: BEFE011E
	global_atomic_pk_add_bf16 v90, v74, s[8:9]                 // 00000000838C: DD488000 00084A5A
	s_mov_b64 exec, s[36:37]                                   // 000000008394: BEFE0124
	s_mov_b64 exec, s[30:31]                                   // 000000008398: BEFE011E
	global_atomic_pk_add_bf16 v90, v75, s[8:9] offset:256      // 00000000839C: DD488100 00084B5A
	s_mov_b64 exec, s[36:37]                                   // 0000000083A4: BEFE0124
	s_mov_b64 exec, s[32:33]                                   // 0000000083A8: BEFE0120
	global_atomic_pk_add_bf16 v92, v76, s[8:9]                 // 0000000083AC: DD488000 00084C5C
	s_mov_b64 exec, s[36:37]                                   // 0000000083B4: BEFE0124
	s_mov_b64 exec, s[32:33]                                   // 0000000083B8: BEFE0120
	global_atomic_pk_add_bf16 v92, v77, s[8:9] offset:256      // 0000000083BC: DD488100 00084D5C
	s_mov_b64 exec, s[36:37]                                   // 0000000083C4: BEFE0124
	s_mov_b64 exec, s[34:35]                                   // 0000000083C8: BEFE0122
	global_atomic_pk_add_bf16 v94, v78, s[8:9]                 // 0000000083CC: DD488000 00084E5E
	s_mov_b64 exec, s[36:37]                                   // 0000000083D4: BEFE0124
	s_mov_b64 exec, s[34:35]                                   // 0000000083D8: BEFE0122
	global_atomic_pk_add_bf16 v94, v79, s[8:9] offset:256      // 0000000083DC: DD488100 00084F5E
	s_mov_b64 exec, s[36:37]                                   // 0000000083E4: BEFE0124
	s_add_u32 s8, s59, s8                                      // 0000000083E8: 8008083B
	s_addc_u32 s9, 0, s9                                       // 0000000083EC: 82090980
	s_addk_i32 s80, 0x100                                      // 0000000083F0: B7500100
	s_cmp_lt_i32 s80, s81                                      // 0000000083F4: BF045150
	s_cbranch_scc0 label_0C34                                  // 0000000083F8: BF84F5F5
	s_branch label_11B7                                        // 0000000083FC: BF82FB77

0000000000008400 <label_1640>:
	s_waitcnt vmcnt(0) expcnt(0) lgkmcnt(0)                    // 000000008400: BF8C0000
	s_endpgm                                                   // 000000008404: BF810000
